;; amdgpu-corpus repo=ROCm/rocFFT kind=compiled arch=gfx1201 opt=O3
	.text
	.amdgcn_target "amdgcn-amd-amdhsa--gfx1201"
	.amdhsa_code_object_version 6
	.protected	bluestein_single_fwd_len825_dim1_half_op_CI_CI ; -- Begin function bluestein_single_fwd_len825_dim1_half_op_CI_CI
	.globl	bluestein_single_fwd_len825_dim1_half_op_CI_CI
	.p2align	8
	.type	bluestein_single_fwd_len825_dim1_half_op_CI_CI,@function
bluestein_single_fwd_len825_dim1_half_op_CI_CI: ; @bluestein_single_fwd_len825_dim1_half_op_CI_CI
; %bb.0:
	s_load_b128 s[12:15], s[0:1], 0x28
	v_mul_u32_u24_e32 v1, 0x4a8, v0
	s_mov_b32 s2, exec_lo
	v_mov_b32_e32 v23, 0
	s_delay_alu instid0(VALU_DEP_2) | instskip(NEXT) | instid1(VALU_DEP_1)
	v_lshrrev_b32_e32 v1, 16, v1
	v_add_nc_u32_e32 v22, ttmp9, v1
	s_wait_kmcnt 0x0
	s_delay_alu instid0(VALU_DEP_1)
	v_cmpx_gt_u64_e64 s[12:13], v[22:23]
	s_cbranch_execz .LBB0_15
; %bb.1:
	s_clause 0x1
	s_load_b128 s[4:7], s[0:1], 0x18
	s_load_b64 s[12:13], s[0:1], 0x0
	v_mul_lo_u16 v1, v1, 55
	s_delay_alu instid0(VALU_DEP_1) | instskip(NEXT) | instid1(VALU_DEP_1)
	v_sub_nc_u16 v7, v0, v1
	v_and_b32_e32 v70, 0xffff, v7
	s_wait_kmcnt 0x0
	s_load_b128 s[8:11], s[4:5], 0x0
	s_wait_kmcnt 0x0
	v_mad_co_u64_u32 v[0:1], null, s10, v22, 0
	v_mad_co_u64_u32 v[2:3], null, s8, v70, 0
	s_mul_u64 s[2:3], s[8:9], 0x4b
	s_delay_alu instid0(VALU_DEP_1) | instskip(NEXT) | instid1(VALU_DEP_2)
	v_mad_co_u64_u32 v[4:5], null, s11, v22, v[1:2]
	v_dual_mov_b32 v1, v3 :: v_dual_lshlrev_b32 v54, 2, v70
	s_delay_alu instid0(VALU_DEP_1) | instskip(NEXT) | instid1(VALU_DEP_3)
	v_mad_co_u64_u32 v[5:6], null, s9, v70, v[1:2]
	v_mov_b32_e32 v1, v4
	s_clause 0xa
	global_load_b32 v75, v54, s[12:13]
	global_load_b32 v73, v54, s[12:13] offset:300
	global_load_b32 v71, v54, s[12:13] offset:600
	;; [unrolled: 1-line block ×10, first 2 shown]
	v_lshlrev_b64_e32 v[0:1], 2, v[0:1]
	v_mov_b32_e32 v3, v5
	s_delay_alu instid0(VALU_DEP_1) | instskip(NEXT) | instid1(VALU_DEP_3)
	v_lshlrev_b64_e32 v[2:3], 2, v[2:3]
	v_add_co_u32 v0, vcc_lo, s14, v0
	s_delay_alu instid0(VALU_DEP_4) | instskip(SKIP_1) | instid1(VALU_DEP_2)
	v_add_co_ci_u32_e32 v1, vcc_lo, s15, v1, vcc_lo
	s_lshl_b64 s[14:15], s[2:3], 2
	v_add_co_u32 v0, vcc_lo, v0, v2
	s_wait_alu 0xfffd
	s_delay_alu instid0(VALU_DEP_2)
	v_add_co_ci_u32_e32 v1, vcc_lo, v1, v3, vcc_lo
	v_add_co_u32 v20, s2, s12, v54
	s_wait_alu 0xfffe
	v_add_co_u32 v2, vcc_lo, v0, s14
	s_wait_alu 0xfffd
	v_add_co_ci_u32_e32 v3, vcc_lo, s15, v1, vcc_lo
	global_load_b32 v4, v[0:1], off
	v_add_co_ci_u32_e64 v21, null, s13, 0, s2
	global_load_b32 v5, v[2:3], off
	v_add_co_u32 v0, vcc_lo, v2, s14
	s_wait_alu 0xfffd
	v_add_co_ci_u32_e32 v1, vcc_lo, s15, v3, vcc_lo
	s_delay_alu instid0(VALU_DEP_2) | instskip(SKIP_1) | instid1(VALU_DEP_2)
	v_add_co_u32 v2, vcc_lo, v0, s14
	s_wait_alu 0xfffd
	v_add_co_ci_u32_e32 v3, vcc_lo, s15, v1, vcc_lo
	s_clause 0x1
	global_load_b32 v6, v[0:1], off
	global_load_b32 v8, v[2:3], off
	v_add_co_u32 v0, vcc_lo, v2, s14
	s_wait_alu 0xfffd
	v_add_co_ci_u32_e32 v1, vcc_lo, s15, v3, vcc_lo
	s_delay_alu instid0(VALU_DEP_2) | instskip(SKIP_1) | instid1(VALU_DEP_2)
	v_add_co_u32 v2, vcc_lo, v0, s14
	s_wait_alu 0xfffd
	v_add_co_ci_u32_e32 v3, vcc_lo, s15, v1, vcc_lo
	global_load_b32 v9, v[0:1], off
	global_load_b32 v10, v[2:3], off
	v_add_co_u32 v0, vcc_lo, v2, s14
	s_wait_alu 0xfffd
	v_add_co_ci_u32_e32 v1, vcc_lo, s15, v3, vcc_lo
	s_delay_alu instid0(VALU_DEP_2) | instskip(SKIP_1) | instid1(VALU_DEP_2)
	v_add_co_u32 v2, vcc_lo, v0, s14
	s_wait_alu 0xfffd
	v_add_co_ci_u32_e32 v3, vcc_lo, s15, v1, vcc_lo
	global_load_b32 v11, v[0:1], off
	v_add_co_u32 v0, vcc_lo, v2, s14
	s_wait_alu 0xfffd
	v_add_co_ci_u32_e32 v1, vcc_lo, s15, v3, vcc_lo
	global_load_b32 v12, v[2:3], off
	;; [unrolled: 4-line block ×4, first 2 shown]
	global_load_b32 v14, v[0:1], off
	s_load_b64 s[10:11], s[0:1], 0x38
	s_load_b128 s[4:7], s[6:7], 0x0
	v_add_nc_u32_e32 v2, 0x400, v54
	v_cmp_gt_u16_e32 vcc_lo, 20, v7
	s_wait_loadcnt 0x15
	v_lshrrev_b32_e32 v77, 16, v75
	s_wait_loadcnt 0x14
	v_lshrrev_b32_e32 v76, 16, v73
	;; [unrolled: 2-line block ×12, first 2 shown]
	v_mul_f16_e32 v16, v77, v4
	s_wait_loadcnt 0x9
	v_lshrrev_b32_e32 v18, 16, v5
	v_mul_f16_e32 v19, v76, v5
	v_mul_f16_e32 v17, v77, v15
	v_fma_f16 v15, v75, v15, -v16
	s_delay_alu instid0(VALU_DEP_2)
	v_fmac_f16_e32 v17, v75, v4
	v_mul_f16_e32 v4, v76, v18
	v_fma_f16 v18, v73, v18, -v19
	s_wait_loadcnt 0x8
	v_lshrrev_b32_e32 v16, 16, v6
	v_mul_f16_e32 v19, v74, v6
	v_pack_b32_f16 v15, v17, v15
	v_fmac_f16_e32 v4, v73, v5
	s_wait_loadcnt 0x7
	v_lshrrev_b32_e32 v17, 16, v8
	v_mul_f16_e32 v5, v74, v16
	v_mul_f16_e32 v23, v72, v8
	v_fma_f16 v16, v71, v16, -v19
	v_pack_b32_f16 v4, v4, v18
	s_delay_alu instid0(VALU_DEP_4)
	v_fmac_f16_e32 v5, v71, v6
	v_mul_f16_e32 v6, v72, v17
	s_wait_loadcnt 0x6
	v_lshrrev_b32_e32 v18, 16, v9
	v_fma_f16 v17, v69, v17, -v23
	ds_store_2addr_b32 v54, v15, v4 offset1:75
	v_pack_b32_f16 v4, v5, v16
	v_fmac_f16_e32 v6, v69, v8
	v_mul_f16_e32 v5, v68, v18
	s_wait_loadcnt 0x5
	v_lshrrev_b32_e32 v8, 16, v10
	v_mul_f16_e32 v15, v67, v10
	v_mul_f16_e32 v19, v68, v9
	v_pack_b32_f16 v6, v6, v17
	v_fmac_f16_e32 v5, v66, v9
	v_mul_f16_e32 v9, v67, v8
	v_fma_f16 v8, v65, v8, -v15
	s_wait_loadcnt 0x4
	v_lshrrev_b32_e32 v15, 16, v11
	v_mul_f16_e32 v17, v64, v11
	ds_store_2addr_b32 v54, v4, v6 offset0:150 offset1:225
	v_fmac_f16_e32 v9, v65, v10
	s_wait_loadcnt 0x3
	v_lshrrev_b32_e32 v6, 16, v12
	v_mul_f16_e32 v4, v64, v15
	v_fma_f16 v10, v63, v15, -v17
	v_mul_f16_e32 v15, v62, v12
	v_pack_b32_f16 v8, v9, v8
	v_mul_f16_e32 v9, v62, v6
	v_fma_f16 v16, v66, v18, -v19
	v_fmac_f16_e32 v4, v63, v11
	s_wait_loadcnt 0x2
	v_lshrrev_b32_e32 v11, 16, v13
	v_fma_f16 v6, v61, v6, -v15
	v_mul_f16_e32 v15, v60, v13
	v_fmac_f16_e32 v9, v61, v12
	s_wait_loadcnt 0x1
	v_lshrrev_b32_e32 v12, 16, v3
	v_pack_b32_f16 v5, v5, v16
	s_wait_loadcnt 0x0
	v_lshrrev_b32_e32 v16, 16, v14
	v_pack_b32_f16 v10, v4, v10
	v_mul_f16_e32 v4, v60, v11
	v_fma_f16 v11, v59, v11, -v15
	v_mul_f16_e32 v15, v58, v3
	v_pack_b32_f16 v6, v9, v6
	v_mul_f16_e32 v9, v58, v12
	v_mul_f16_e32 v17, v57, v16
	;; [unrolled: 1-line block ×3, first 2 shown]
	v_fmac_f16_e32 v4, v59, v13
	v_fma_f16 v12, v56, v12, -v15
	v_fmac_f16_e32 v9, v56, v3
	v_fmac_f16_e32 v17, v55, v14
	v_fma_f16 v13, v55, v16, -v18
	v_add_nc_u32_e32 v3, 0x600, v54
	v_pack_b32_f16 v11, v4, v11
	v_add_nc_u32_e32 v4, 0x800, v54
	v_pack_b32_f16 v9, v9, v12
	v_pack_b32_f16 v12, v17, v13
	ds_store_2addr_b32 v2, v5, v8 offset0:44 offset1:119
	ds_store_2addr_b32 v3, v10, v6 offset0:66 offset1:141
	;; [unrolled: 1-line block ×3, first 2 shown]
	ds_store_b32 v54, v12 offset:3000
	s_and_saveexec_b32 s3, vcc_lo
	s_cbranch_execz .LBB0_3
; %bb.2:
	v_mad_co_u64_u32 v[0:1], null, 0xfffff524, s8, v[0:1]
	s_mul_i32 s2, s9, 0xfffff524
	s_wait_alu 0xfffe
	s_sub_co_i32 s2, s2, s8
	s_wait_alu 0xfffe
	s_delay_alu instid0(VALU_DEP_1) | instskip(NEXT) | instid1(VALU_DEP_2)
	v_add_nc_u32_e32 v1, s2, v1
	v_add_co_u32 v5, s2, v0, s14
	s_wait_alu 0xf1ff
	s_delay_alu instid0(VALU_DEP_2)
	v_add_co_ci_u32_e64 v6, s2, s15, v1, s2
	s_clause 0x7
	global_load_b32 v9, v[20:21], off offset:220
	global_load_b32 v10, v[20:21], off offset:520
	;; [unrolled: 1-line block ×8, first 2 shown]
	global_load_b32 v17, v[0:1], off
	global_load_b32 v18, v[5:6], off
	s_clause 0x1
	global_load_b32 v19, v[20:21], off offset:2620
	global_load_b32 v23, v[20:21], off offset:2920
	v_add_co_u32 v0, s2, v5, s14
	s_wait_alu 0xf1ff
	v_add_co_ci_u32_e64 v1, s2, s15, v6, s2
	global_load_b32 v24, v[20:21], off offset:3220
	v_add_co_u32 v5, s2, v0, s14
	s_wait_alu 0xf1ff
	v_add_co_ci_u32_e64 v6, s2, s15, v1, s2
	global_load_b32 v25, v[0:1], off
	global_load_b32 v26, v[5:6], off
	v_add_co_u32 v0, s2, v5, s14
	s_wait_alu 0xf1ff
	v_add_co_ci_u32_e64 v1, s2, s15, v6, s2
	s_delay_alu instid0(VALU_DEP_2) | instskip(SKIP_1) | instid1(VALU_DEP_2)
	v_add_co_u32 v5, s2, v0, s14
	s_wait_alu 0xf1ff
	v_add_co_ci_u32_e64 v6, s2, s15, v1, s2
	global_load_b32 v27, v[0:1], off
	v_add_co_u32 v0, s2, v5, s14
	s_wait_alu 0xf1ff
	v_add_co_ci_u32_e64 v1, s2, s15, v6, s2
	global_load_b32 v28, v[5:6], off
	;; [unrolled: 4-line block ×4, first 2 shown]
	v_add_co_u32 v5, s2, v0, s14
	s_wait_alu 0xf1ff
	v_add_co_ci_u32_e64 v6, s2, s15, v1, s2
	s_delay_alu instid0(VALU_DEP_2) | instskip(SKIP_1) | instid1(VALU_DEP_2)
	v_add_co_u32 v7, s2, v5, s14
	s_wait_alu 0xf1ff
	v_add_co_ci_u32_e64 v8, s2, s15, v6, s2
	global_load_b32 v0, v[0:1], off
	global_load_b32 v1, v[5:6], off
	;; [unrolled: 1-line block ×3, first 2 shown]
	v_add_nc_u32_e32 v6, 0x200, v54
	s_wait_loadcnt 0x15
	v_lshrrev_b32_e32 v7, 16, v9
	s_wait_loadcnt 0x14
	v_lshrrev_b32_e32 v8, 16, v10
	;; [unrolled: 2-line block ×9, first 2 shown]
	v_mul_f16_e32 v40, v7, v17
	s_wait_loadcnt 0xc
	v_lshrrev_b32_e32 v41, 16, v18
	v_mul_f16_e32 v43, v8, v18
	s_wait_loadcnt 0xb
	v_lshrrev_b32_e32 v38, 16, v19
	v_mul_f16_e32 v7, v7, v36
	v_fma_f16 v36, v9, v36, -v40
	v_mul_f16_e32 v8, v8, v41
	s_wait_loadcnt 0xa
	v_lshrrev_b32_e32 v39, 16, v23
	s_wait_loadcnt 0x9
	v_lshrrev_b32_e32 v42, 16, v24
	v_fmac_f16_e32 v7, v9, v17
	v_fma_f16 v17, v10, v41, -v43
	v_fmac_f16_e32 v8, v10, v18
	s_wait_loadcnt 0x8
	v_lshrrev_b32_e32 v9, 16, v25
	v_mul_f16_e32 v40, v31, v25
	s_wait_loadcnt 0x7
	v_lshrrev_b32_e32 v18, 16, v26
	v_pack_b32_f16 v7, v7, v36
	v_pack_b32_f16 v8, v8, v17
	v_mul_f16_e32 v10, v31, v9
	v_mul_f16_e32 v31, v32, v26
	v_fma_f16 v9, v11, v9, -v40
	ds_store_2addr_b32 v54, v7, v8 offset0:55 offset1:130
	v_fmac_f16_e32 v10, v11, v25
	v_mul_f16_e32 v11, v32, v18
	v_fma_f16 v17, v12, v18, -v31
	s_wait_loadcnt 0x6
	v_lshrrev_b32_e32 v18, 16, v27
	v_mul_f16_e32 v25, v33, v27
	v_pack_b32_f16 v7, v10, v9
	s_wait_loadcnt 0x5
	v_lshrrev_b32_e32 v9, 16, v28
	v_fmac_f16_e32 v11, v12, v26
	v_mul_f16_e32 v8, v33, v18
	v_mul_f16_e32 v10, v34, v28
	v_fma_f16 v12, v13, v18, -v25
	s_delay_alu instid0(VALU_DEP_4) | instskip(NEXT) | instid1(VALU_DEP_4)
	v_pack_b32_f16 v11, v11, v17
	v_fmac_f16_e32 v8, v13, v27
	v_mul_f16_e32 v13, v34, v9
	v_fma_f16 v9, v14, v9, -v10
	s_wait_loadcnt 0x4
	v_lshrrev_b32_e32 v10, 16, v29
	v_mul_f16_e32 v17, v35, v29
	v_pack_b32_f16 v8, v8, v12
	v_fmac_f16_e32 v13, v14, v28
	s_wait_loadcnt 0x3
	v_lshrrev_b32_e32 v12, 16, v30
	v_mul_f16_e32 v14, v35, v10
	v_mul_f16_e32 v18, v37, v30
	v_fma_f16 v10, v15, v10, -v17
	v_pack_b32_f16 v9, v13, v9
	v_mul_f16_e32 v13, v37, v12
	v_fmac_f16_e32 v14, v15, v29
	v_fma_f16 v12, v16, v12, -v18
	s_wait_loadcnt 0x2
	v_lshrrev_b32_e32 v15, 16, v0
	v_mul_f16_e32 v17, v38, v0
	v_fmac_f16_e32 v13, v16, v30
	s_wait_loadcnt 0x1
	v_lshrrev_b32_e32 v16, 16, v1
	s_wait_loadcnt 0x0
	v_lshrrev_b32_e32 v18, 16, v5
	v_mul_f16_e32 v25, v38, v15
	v_fma_f16 v15, v19, v15, -v17
	v_mul_f16_e32 v17, v39, v1
	v_mul_f16_e32 v26, v39, v16
	;; [unrolled: 1-line block ×4, first 2 shown]
	v_fmac_f16_e32 v25, v19, v0
	v_fma_f16 v0, v23, v16, -v17
	v_fmac_f16_e32 v26, v23, v1
	v_fmac_f16_e32 v27, v24, v5
	v_fma_f16 v1, v24, v18, -v28
	v_pack_b32_f16 v5, v14, v10
	v_pack_b32_f16 v10, v13, v12
	;; [unrolled: 1-line block ×5, first 2 shown]
	ds_store_2addr_b32 v6, v7, v11 offset0:77 offset1:152
	ds_store_2addr_b32 v2, v8, v9 offset0:99 offset1:174
	;; [unrolled: 1-line block ×4, first 2 shown]
	ds_store_b32 v54, v1 offset:3220
.LBB0_3:
	s_wait_alu 0xfffe
	s_or_b32 exec_lo, exec_lo, s3
	global_wb scope:SCOPE_SE
	s_wait_dscnt 0x0
	s_wait_kmcnt 0x0
	s_barrier_signal -1
	s_barrier_wait -1
	global_inv scope:SCOPE_SE
	ds_load_2addr_b32 v[10:11], v54 offset1:75
	ds_load_2addr_b32 v[16:17], v54 offset0:150 offset1:225
	ds_load_2addr_b32 v[12:13], v2 offset0:44 offset1:119
	;; [unrolled: 1-line block ×4, first 2 shown]
	ds_load_b32 v29, v54 offset:3000
	s_load_b64 s[2:3], s[0:1], 0x8
	v_mov_b32_e32 v2, 0
                                        ; implicit-def: $vgpr4
                                        ; implicit-def: $vgpr7
                                        ; implicit-def: $vgpr0
                                        ; implicit-def: $vgpr9
                                        ; implicit-def: $vgpr25
	s_and_saveexec_b32 s0, vcc_lo
	s_cbranch_execz .LBB0_5
; %bb.4:
	v_add_nc_u32_e32 v0, 0x200, v54
	v_add_nc_u32_e32 v1, 0x400, v54
	;; [unrolled: 1-line block ×4, first 2 shown]
	ds_load_2addr_b32 v[2:3], v54 offset0:55 offset1:130
	ds_load_2addr_b32 v[8:9], v0 offset0:77 offset1:152
	ds_load_2addr_b32 v[6:7], v1 offset0:99 offset1:174
	ds_load_2addr_b32 v[4:5], v4 offset0:121 offset1:196
	ds_load_2addr_b32 v[0:1], v23 offset0:143 offset1:218
	ds_load_b32 v25, v54 offset:3220
.LBB0_5:
	s_wait_alu 0xfffe
	s_or_b32 exec_lo, exec_lo, s0
	s_wait_dscnt 0x0
	v_pk_add_f16 v23, v3, v25 neg_lo:[0,1] neg_hi:[0,1]
	v_pk_add_f16 v36, v25, v3
	v_pk_add_f16 v24, v8, v1 neg_lo:[0,1] neg_hi:[0,1]
	v_pk_add_f16 v48, v1, v8
	v_pk_add_f16 v94, v9, v0 neg_lo:[0,1] neg_hi:[0,1]
	v_lshrrev_b32_e32 v26, 16, v23
	v_lshrrev_b32_e32 v46, 16, v36
	v_mul_f16_e32 v37, 0xbb47, v23
	v_lshrrev_b32_e32 v34, 16, v24
	v_mul_f16_e32 v35, 0xb482, v23
	v_mul_f16_e32 v30, 0xb853, v26
	;; [unrolled: 1-line block ×4, first 2 shown]
	v_fma_f16 v78, v46, 0x36a6, -v37
	v_mul_f16_e32 v26, 0xba0c, v26
	v_fmamk_f16 v53, v36, 0x3abb, v30
	v_fmamk_f16 v79, v36, 0x36a6, v33
	v_mul_f16_e32 v31, 0xbb47, v34
	v_mul_f16_e32 v32, 0xba0c, v34
	v_lshrrev_b32_e32 v49, 16, v48
	v_mul_f16_e32 v40, 0xba0c, v24
	v_mul_f16_e32 v43, 0x3482, v34
	;; [unrolled: 1-line block ×4, first 2 shown]
	v_lshrrev_b32_e32 v38, 16, v94
	v_pk_add_f16 v51, v0, v9
	v_pk_add_f16 v107, v6, v5 neg_lo:[0,1] neg_hi:[0,1]
	v_lshrrev_b32_e32 v88, 16, v2
	v_mul_f16_e32 v42, 0xbbeb, v23
	v_mul_f16_e32 v27, 0xba0c, v23
	v_fma_f16 v82, v36, 0xb93d, -v26
	v_fmac_f16_e32 v26, 0xb93d, v36
	v_fmamk_f16 v84, v46, 0xbbad, v35
	v_fma_f16 v85, v46, 0xbbad, -v35
	v_fmamk_f16 v86, v48, 0x36a6, v31
	v_fmamk_f16 v87, v48, 0xb93d, v32
	v_fma_f16 v90, v49, 0xb93d, -v40
	v_fmamk_f16 v100, v49, 0xb08e, v34
	v_fma_f16 v101, v49, 0xb08e, -v34
	v_mul_f16_e32 v34, 0xbbeb, v38
	v_mul_f16_e32 v35, 0x3482, v38
	v_lshrrev_b32_e32 v52, 16, v51
	v_mul_f16_e32 v47, 0x3b47, v38
	v_mul_f16_e32 v106, 0xb853, v38
	;; [unrolled: 1-line block ×3, first 2 shown]
	v_lshrrev_b32_e32 v99, 16, v107
	v_add_f16_e32 v91, v53, v2
	v_add_f16_e32 v79, v79, v2
	;; [unrolled: 1-line block ×3, first 2 shown]
	v_pk_mul_f16 v98, 0xb482b853, v23
	v_fmamk_f16 v80, v36, 0xb08e, v41
	v_fma_f16 v81, v46, 0xb08e, -v42
	v_fmamk_f16 v83, v46, 0xb93d, v27
	v_fma_f16 v27, v46, 0xb93d, -v27
	v_mul_f16_e32 v45, 0x3482, v24
	v_fma_f16 v97, v48, 0xb08e, -v92
	v_fmac_f16_e32 v92, 0xb08e, v48
	v_mul_f16_e32 v108, 0x3853, v24
	v_fmamk_f16 v113, v52, 0x3abb, v38
	v_pk_add_f16 v89, v5, v6
	v_mul_f16_e32 v39, 0xba0c, v99
	v_fma_f16 v115, v52, 0x3abb, -v38
	v_mul_f16_e32 v38, 0x3beb, v99
	v_add_f16_e32 v86, v86, v91
	v_add_f16_e32 v79, v87, v79
	;; [unrolled: 1-line block ×3, first 2 shown]
	v_mul_f16_e32 v91, 0xb853, v99
	v_mul_f16_e32 v90, 0xb482, v99
	v_pk_fma_f16 v87, 0x3abbbbad, v36, v98 op_sel:[0,0,1] op_sel_hi:[1,1,0] neg_lo:[0,0,1] neg_hi:[0,0,1]
	v_add_f16_e32 v26, v26, v2
	v_pk_mul_f16 v99, 0x3853bb47, v24
	v_fmamk_f16 v93, v48, 0xbbad, v43
	v_fma_f16 v96, v49, 0xbbad, -v45
	v_mul_f16_e32 v44, 0x3482, v94
	v_fma_f16 v102, v49, 0x3abb, -v108
	v_fmamk_f16 v103, v51, 0xb08e, v34
	v_fmamk_f16 v104, v51, 0xbbad, v35
	v_mul_f16_e32 v50, 0x3b47, v94
	v_mul_f16_e32 v114, 0xba0c, v94
	v_lshrrev_b32_e32 v95, 16, v89
	v_add_f16_e32 v80, v80, v2
	v_add_f16_e32 v81, v81, v88
	;; [unrolled: 1-line block ×5, first 2 shown]
	v_pk_add_f16 v27, v87, v2
	v_add_f16_e32 v87, v92, v26
	v_pk_fma_f16 v26, 0x36a63abb, v48, v99 op_sel:[0,0,1] op_sel_hi:[1,1,0] neg_lo:[0,0,1] neg_hi:[0,0,1]
	v_mul_f16_e32 v92, 0xb482, v107
	v_add_f16_e32 v85, v85, v88
	v_pk_add_f16 v122, v7, v4 neg_lo:[0,1] neg_hi:[0,1]
	v_fma_f16 v105, v52, 0xbbad, -v44
	v_fmamk_f16 v110, v51, 0x36a6, v47
	v_fma_f16 v111, v52, 0x36a6, -v50
	v_fma_f16 v112, v51, 0x3abb, -v106
	v_fmac_f16_e32 v106, 0x3abb, v51
	v_fma_f16 v117, v52, 0xb93d, -v114
	v_fmamk_f16 v118, v89, 0xb93d, v39
	v_mul_f16_e32 v53, 0x3beb, v107
	v_add_f16_e32 v80, v93, v80
	v_mul_f16_e32 v93, 0xb853, v107
	v_add_f16_e32 v23, v96, v81
	v_add_f16_e32 v82, v97, v82
	;; [unrolled: 1-line block ×4, first 2 shown]
	v_pk_add_f16 v27, v26, v27
	v_add_f16_e32 v85, v102, v85
	v_fmamk_f16 v100, v95, 0xbbad, v92
	v_fma_f16 v121, v95, 0xbbad, -v92
	v_add_f16_e32 v92, v103, v86
	v_add_f16_e32 v79, v104, v79
	v_lshrrev_b32_e32 v26, 16, v122
	v_pk_mul_f16 v102, 0xba0cbbeb, v94
	v_pk_add_f16 v104, v4, v7
	v_pk_add_f16 v28, v10, v11
	v_fmamk_f16 v119, v89, 0xb08e, v38
	v_fma_f16 v120, v95, 0xb08e, -v53
	v_fmamk_f16 v81, v89, 0x3abb, v91
	v_fma_f16 v96, v95, 0x3abb, -v93
	v_fma_f16 v97, v89, 0xbbad, -v90
	v_fmac_f16_e32 v90, 0xbbad, v89
	v_add_f16_e32 v78, v105, v78
	v_add_f16_e32 v80, v110, v80
	;; [unrolled: 1-line block ×5, first 2 shown]
	v_pk_fma_f16 v94, 0xb08eb93d, v51, v102 op_sel:[0,0,1] op_sel_hi:[1,1,0] neg_lo:[0,0,1] neg_hi:[0,0,1]
	v_add_f16_e32 v110, v106, v87
	v_add_f16_e32 v112, v115, v24
	v_mul_f16_e32 v87, 0x3853, v26
	v_add_f16_e32 v115, v117, v85
	v_lshrrev_b32_e32 v106, 16, v104
	v_add_f16_e32 v117, v118, v92
	v_mul_f16_e32 v92, 0x3853, v122
	v_mul_f16_e32 v101, 0xba0c, v26
	;; [unrolled: 1-line block ×5, first 2 shown]
	v_pk_add_f16 v94, v94, v27
	v_add_f16_e32 v24, v119, v79
	v_fmamk_f16 v79, v104, 0x3abb, v87
	v_add_f16_e32 v118, v120, v78
	v_add_f16_e32 v78, v81, v80
	v_fma_f16 v80, v106, 0x3abb, -v92
	v_add_f16_e32 v81, v96, v23
	v_add_f16_e32 v27, v97, v82
	v_fmamk_f16 v23, v104, 0xb93d, v101
	v_add_f16_e32 v82, v100, v83
	v_pk_mul_f16 v105, 0x3b47ba0c, v107
	v_add_f16_e32 v85, v90, v110
	v_fma_f16 v90, v106, 0xb93d, -v103
	v_pk_fma_f16 v100, 0x3abbbbad, v36, v98 op_sel:[0,0,1] op_sel_hi:[1,1,0]
	v_pk_mul_f16 v97, 0x36a63abb, v48
	v_pk_add_f16 v28, v28, v16
	v_mul_f16_e32 v116, 0xb93d, v52
	v_fmamk_f16 v113, v104, 0xbbad, v86
	v_mul_f16_e32 v83, 0x3b47, v122
	v_add_f16_e32 v24, v79, v24
	v_add_f16_e32 v23, v23, v78
	v_pk_fma_f16 v78, 0xb93d36a6, v89, v105 op_sel:[0,0,1] op_sel_hi:[1,1,0] neg_lo:[0,0,1] neg_hi:[0,0,1]
	v_pk_mul_f16 v96, 0xb08eb93d, v51
	v_add_f16_e32 v79, v80, v118
	v_add_f16_e32 v80, v90, v81
	v_pack_b32_f16 v81, v108, v100
	v_perm_b32 v90, v2, v109, 0x5040100
	v_pack_b32_f16 v84, v84, v97
	v_perm_b32 v108, v99, v2, 0x7060302
	v_pk_add_f16 v28, v28, v17
	v_mul_f16_e32 v123, 0x36a6, v95
	v_mul_f16_e32 v124, 0x3b47, v107
	v_fmamk_f16 v110, v106, 0x36a6, v83
	v_fma_f16 v83, v106, 0x36a6, -v83
	v_add_f16_e32 v112, v121, v112
	v_pk_add_f16 v119, v78, v94
	v_add_f16_e32 v78, v113, v117
	v_pk_mul_f16 v94, 0xb93d36a6, v89
	v_pk_add_f16 v90, v81, v90
	v_pk_add_f16 v84, v84, v108
	v_pack_b32_f16 v108, v114, v96
	v_bfi_b32 v113, 0xffff, v116, v102
	v_pk_add_f16 v28, v28, v12
	v_pk_mul_f16 v107, 0xbbebb482, v122
	v_pk_mul_f16 v100, 0xbbadb08e, v104
	v_add_f16_e32 v82, v110, v82
	v_add_f16_e32 v81, v83, v112
	v_pk_add_f16 v83, v84, v90
	v_pk_add_f16 v84, v108, v113
	v_pack_b32_f16 v90, v124, v94
	v_bfi_b32 v108, 0xffff, v123, v105
	v_pk_add_f16 v28, v28, v13
	v_mul_f16_e32 v110, 0xb08e, v106
	v_mul_f16_e32 v112, 0xbbeb, v122
	v_pk_add_f16 v83, v84, v83
	v_pk_add_f16 v84, v90, v108
	;; [unrolled: 1-line block ×3, first 2 shown]
	v_bfi_b32 v110, 0xffff, v110, v107
	v_pack_b32_f16 v108, v112, v100
	v_fma_f16 v111, v95, 0x36a6, -v124
	v_pk_add_f16 v90, v11, v29 neg_lo:[0,1] neg_hi:[0,1]
	v_pk_add_f16 v83, v84, v83
	v_pk_add_f16 v84, v28, v15
	v_pk_add_f16 v114, v29, v11
	v_pk_add_f16 v11, v108, v110
	v_add_f16_e32 v111, v111, v115
	v_lshrrev_b32_e32 v113, 16, v90
	v_pk_add_f16 v84, v84, v18
	v_pk_fma_f16 v109, 0xbbadb08e, v104, v107 op_sel:[0,0,1] op_sel_hi:[1,1,0] neg_lo:[0,0,1] neg_hi:[0,0,1]
	v_pk_add_f16 v83, v11, v83
	v_fma_f16 v11, v106, 0xb08e, -v112
	v_mul_f16_e32 v108, 0xb853, v113
	v_pk_add_f16 v110, v84, v19
	v_pk_add_f16 v28, v109, v119
	v_pk_mul_f16 v109, 0x3abb36a6, v114
	v_add_f16_e32 v84, v11, v111
	v_pk_add_f16 v111, v19, v16
	v_pk_add_f16 v16, v16, v19 neg_lo:[0,1] neg_hi:[0,1]
	v_fma_f16 v112, v114, 0x3abb, -v108
	v_pk_fma_f16 v115, 0xbb47b853, v90, v109 op_sel:[0,0,1] op_sel_hi:[1,1,0] neg_lo:[0,1,0] neg_hi:[0,1,0]
	v_pk_fma_f16 v109, 0xbb47b853, v90, v109 op_sel:[0,0,1] op_sel_hi:[1,1,0]
	v_pk_add_f16 v11, v110, v29
	v_lshrrev_b32_e32 v123, 16, v16
	v_add_f16_e32 v29, v10, v112
	v_pk_add_f16 v19, v18, v17
	v_pk_add_f16 v17, v17, v18 neg_lo:[0,1] neg_hi:[0,1]
	v_pk_add_f16 v18, v15, v12
	v_pk_add_f16 v12, v12, v15 neg_lo:[0,1] neg_hi:[0,1]
	;; [unrolled: 2-line block ×3, first 2 shown]
	v_mul_f16_e32 v14, 0xbbeb, v113
	v_mul_f16_e32 v112, 0xba0c, v113
	v_pk_mul_f16 v113, 0xbbad, v114 op_sel_hi:[0,1]
	v_pk_mul_f16 v125, 0x36a6b93d, v111
	v_mul_f16_e32 v126, 0xbb47, v123
	v_fmac_f16_e32 v108, 0x3abb, v114
	v_bfi_b32 v110, 0xffff, v109, v115
	v_fma_f16 v116, v114, 0xb08e, -v14
	v_fmac_f16_e32 v14, 0xb08e, v114
	v_pk_fma_f16 v117, 0xb482, v90, v113 op_sel:[0,0,1] op_sel_hi:[0,1,0] neg_lo:[0,1,0] neg_hi:[0,1,0]
	v_fma_f16 v118, v114, 0xb93d, -v112
	v_fmac_f16_e32 v112, 0xb93d, v114
	v_pk_fma_f16 v113, 0xb482, v90, v113 op_sel:[0,0,1] op_sel_hi:[0,1,0]
	v_lshrrev_b32_e32 v114, 16, v114
	v_mul_f16_e32 v121, 0xbb47, v90
	v_mul_f16_e32 v122, 0xbbeb, v90
	;; [unrolled: 1-line block ×3, first 2 shown]
	v_pk_fma_f16 v128, 0xba0cbb47, v16, v125 op_sel:[0,0,1] op_sel_hi:[1,1,0] neg_lo:[0,1,0] neg_hi:[0,1,0]
	v_pk_fma_f16 v125, 0xba0cbb47, v16, v125 op_sel:[0,0,1] op_sel_hi:[1,1,0]
	v_fma_f16 v129, v111, 0x36a6, -v126
	v_add_f16_e32 v108, v10, v108
	v_pk_add_f16 v110, v10, v110 op_sel:[1,0] op_sel_hi:[0,1]
	v_lshrrev_b32_e32 v120, 16, v10
	v_fmamk_f16 v124, v114, 0x36a6, v121
	v_fma_f16 v121, v114, 0x36a6, -v121
	v_fmamk_f16 v127, v114, 0xb08e, v122
	v_fma_f16 v122, v114, 0xb08e, -v122
	v_fma_f16 v130, 0xb93d, v114, v90
	v_fma_f16 v90, v114, 0xb93d, -v90
	v_fmac_f16_e32 v126, 0x36a6, v111
	v_bfi_b32 v114, 0xffff, v125, v128
	v_add_f16_e64 v29, v129, v29
	v_lshrrev_b32_e32 v129, 16, v111
	v_mul_f16_e64 v131, 0xba0c, v16
	v_alignbit_b32 v109, s0, v109, 16
	v_add_f16_e32 v108, v126, v108
	v_pk_add_f16 v110, v114, v110
	v_add_f16_e32 v114, v120, v124
	v_fma_f16 v126, 0xb93d, v129, v131
	v_pk_add_f16 v109, v10, v109
	v_alignbit_b32 v125, s0, v125, 16
	v_add_f16_e32 v121, v120, v121
	v_fma_f16 v131, v129, 0xb93d, -v131
	v_add_f16_e32 v114, v126, v114
	v_mul_f16_e32 v126, 0x3482, v16
	v_mul_f16_e32 v124, 0x3482, v123
	v_pk_add_f16 v109, v125, v109
	v_add_f16_e64 v121, v131, v121
	v_add_f16_e32 v125, v120, v127
	v_fma_f16 v127, 0xbbad, v129, v126
	v_mul_f16_e64 v131, 0x3beb, v16
	v_add_f16_e32 v122, v120, v122
	v_fma_f16 v126, v129, 0xbbad, -v126
	v_add_f16_e32 v116, v10, v116
	v_add_f16_e32 v14, v10, v14
	v_fma_f16 v132, v111, 0xbbad, -v124
	v_mul_f16_e32 v123, 0x3beb, v123
	v_fmac_f16_e32 v124, 0xbbad, v111
	v_add_f16_e64 v130, v120, v130
	v_fma_f16 v133, 0xb08e, v129, v131
	v_add_f16_e32 v122, v126, v122
	v_lshrrev_b32_e32 v126, 16, v17
	v_add_f16_e32 v112, v10, v112
	v_add_f16_e64 v116, v132, v116
	v_fma_f16 v132, v111, 0xb08e, -v123
	v_add_f16_e32 v125, v127, v125
	v_add_f16_e32 v14, v124, v14
	v_add_f16_e64 v124, v133, v130
	v_pk_mul_f16 v127, 0xb08ebbad, v19
	v_fmac_f16_e32 v123, 0xb08e, v111
	v_mul_f16_e64 v130, 0xbbeb, v126
	v_add_f16_e32 v118, v10, v118
	v_fma_f16 v129, v129, 0xb08e, -v131
	v_add_f16_e32 v90, v120, v90
	v_pk_fma_f16 v131, 0x3482bbeb, v17, v127 op_sel:[0,0,1] op_sel_hi:[1,1,0] neg_lo:[0,1,0] neg_hi:[0,1,0]
	v_pk_fma_f16 v127, 0x3482bbeb, v17, v127 op_sel:[0,0,1] op_sel_hi:[1,1,0]
	v_add_f16_e32 v112, v123, v112
	v_fma_f16 v123, v19, 0xb08e, -v130
	v_fmac_f16_e64 v130, 0xb08e, v19
	v_add_f16_e64 v118, v132, v118
	v_add_f16_e64 v90, v129, v90
	v_bfi_b32 v129, 0xffff, v127, v131
	v_lshrrev_b32_e32 v132, 16, v19
	v_mul_f16_e64 v133, 0x3482, v17
	v_add_f16_e32 v29, v123, v29
	v_add_f16_e64 v108, v130, v108
	v_mul_f16_e32 v123, 0x3b47, v126
	v_alignbit_b32 v127, s0, v127, 16
	v_mul_f16_e64 v130, 0x3b47, v17
	v_pk_add_f16 v110, v129, v110
	v_fma_f16 v129, 0xbbad, v132, v133
	v_fma_f16 v134, v19, 0x36a6, -v123
	v_pk_add_f16 v109, v127, v109
	v_fma_f16 v127, 0x36a6, v132, v130
	v_mul_f16_e32 v126, 0xb853, v126
	v_fmac_f16_e32 v123, 0x36a6, v19
	v_fma_f16 v133, v132, 0xbbad, -v133
	v_add_f16_e64 v114, v129, v114
	v_add_f16_e32 v125, v127, v125
	v_fma_f16 v127, v132, 0x36a6, -v130
	v_mul_f16_e64 v129, 0xb853, v17
	v_fma_f16 v130, v19, 0x3abb, -v126
	v_add_f16_e32 v14, v123, v14
	v_lshrrev_b32_e32 v123, 16, v12
	v_add_f16_e64 v121, v133, v121
	v_add_f16_e32 v122, v127, v122
	v_fma_f16 v127, 0x3abb, v132, v129
	v_add_f16_e64 v118, v130, v118
	v_fmac_f16_e32 v126, 0x3abb, v19
	v_mul_f16_e64 v130, 0xba0c, v123
	v_pk_mul_f16 v133, 0xb93db08e, v18
	v_add_f16_e64 v116, v134, v116
	v_add_f16_e32 v124, v127, v124
	v_fma_f16 v127, v132, 0x3abb, -v129
	v_add_f16_e32 v112, v126, v112
	v_fma_f16 v126, v18, 0xb93d, -v130
	v_pk_fma_f16 v129, 0x3bebba0c, v12, v133 op_sel:[0,0,1] op_sel_hi:[1,1,0] neg_lo:[0,1,0] neg_hi:[0,1,0]
	v_pk_fma_f16 v132, 0x3bebba0c, v12, v133 op_sel:[0,0,1] op_sel_hi:[1,1,0]
	v_lshrrev_b32_e32 v133, 16, v18
	v_mul_f16_e64 v134, 0x3beb, v12
	v_fmac_f16_e64 v130, 0xb93d, v18
	v_add_f16_e32 v90, v127, v90
	v_add_f16_e32 v115, v120, v115
	;; [unrolled: 1-line block ×3, first 2 shown]
	v_fma_f16 v127, 0xb08e, v133, v134
	v_add_f16_e64 v108, v130, v108
	v_fma_f16 v130, v133, 0xb08e, -v134
	v_mul_f16_e64 v134, 0xb853, v123
	v_mul_f16_e32 v123, 0xb482, v123
	v_add_f16_e32 v114, v127, v114
	v_add_f16_e64 v115, v128, v115
	v_add_f16_e64 v121, v130, v121
	v_mul_f16_e64 v130, 0xb482, v12
	v_fma_f16 v127, v18, 0x3abb, -v134
	v_bfi_b32 v126, 0xffff, v132, v129
	v_add_f16_e64 v115, v131, v115
	v_lshrrev_b32_e32 v131, 16, v15
	v_fma_f16 v136, 0xbbad, v133, v130
	v_add_f16_e32 v116, v127, v116
	v_fma_f16 v127, v18, 0xbbad, -v123
	v_fmac_f16_e32 v123, 0xbbad, v18
	v_pk_add_f16 v110, v126, v110
	v_add_f16_e64 v120, v136, v124
	v_lshrrev_b32_e32 v124, 16, v13
	v_add_f16_e32 v118, v127, v118
	v_fma_f16 v127, v133, 0xbbad, -v130
	v_add_f16_e32 v112, v123, v112
	v_pk_mul_f16 v123, 0xbbad3abb, v15
	v_mul_f16_e64 v128, 0xb482, v124
	v_mul_f16_e32 v126, 0xb853, v12
	v_add_f16_e32 v90, v127, v90
	v_add_f16_e64 v115, v129, v115
	v_pk_fma_f16 v129, 0x3853b482, v13, v123 op_sel:[0,0,1] op_sel_hi:[1,1,0] neg_lo:[0,1,0] neg_hi:[0,1,0]
	v_fma_f16 v127, v15, 0xbbad, -v128
	v_pk_fma_f16 v130, 0x3853b482, v13, v123 op_sel:[0,0,1] op_sel_hi:[1,1,0]
	v_fma_f16 v135, 0x3abb, v133, v126
	v_fma_f16 v126, v133, 0x3abb, -v126
	v_fmac_f16_e64 v128, 0xbbad, v15
	v_mul_f16_e64 v133, 0x3853, v13
	v_add_f16_e32 v29, v127, v29
	v_bfi_b32 v127, 0xffff, v130, v129
	v_mul_f16_e64 v130, 0xba0c, v124
	v_add_f16_e64 v108, v128, v108
	v_add_f16_e64 v115, v129, v115
	v_fma_f16 v128, 0x3abb, v131, v133
	v_fma_f16 v129, v131, 0x3abb, -v133
	v_mul_f16_e64 v133, 0xb93d, v131
	v_pk_add_f16 v110, v127, v110
	v_fma_f16 v127, v15, 0xb93d, -v130
	v_mul_f16_e32 v124, 0x3b47, v124
	v_add_f16_e64 v125, v135, v125
	v_add_f16_e64 v114, v128, v114
	;; [unrolled: 1-line block ×3, first 2 shown]
	v_fma_f16 v128, 0xba0c, v13, v133
	v_mul_f16_e64 v129, 0x3b47, v13
	v_add_f16_e32 v116, v127, v116
	v_fma_f16 v127, v15, 0x36a6, -v124
	v_fmac_f16_e32 v124, 0x36a6, v15
	v_pk_mul_f16 v111, 0x3abb, v111 op_sel_hi:[0,1]
	v_alignbit_b32 v119, s0, v117, 16
	v_add_f16_e64 v125, v128, v125
	v_fma_f16 v128, 0x36a6, v131, v129
	v_fma_f16 v129, v131, 0x36a6, -v129
	v_add_f16_e32 v112, v124, v112
	v_pk_fma_f16 v124, 0x3853, v16, v111 op_sel:[0,0,1] op_sel_hi:[0,1,0] neg_lo:[0,1,0] neg_hi:[0,1,0]
	v_pk_mul_f16 v19, 0xb93d, v19 op_sel_hi:[0,1]
	v_pk_add_f16 v119, v10, v119
	v_pk_add_f16 v113, v10, v113 op_sel:[1,0] op_sel_hi:[0,1]
	v_fmac_f16_e64 v134, 0x3abb, v18
	v_add_f16_e32 v118, v127, v118
	v_add_f16_e64 v127, v129, v90
	v_alignbit_b32 v114, v114, v110, 16
	v_pack_b32_f16 v110, v29, v110
	v_alignbit_b32 v29, s0, v124, 16
	v_pk_fma_f16 v16, 0x3853, v16, v111 op_sel:[0,0,1] op_sel_hi:[0,1,0]
	v_pk_fma_f16 v90, 0xba0c, v17, v19 op_sel:[0,0,1] op_sel_hi:[0,1,0] neg_lo:[0,1,0] neg_hi:[0,1,0]
	v_pk_mul_f16 v18, 0x36a6, v18 op_sel_hi:[0,1]
	v_alignbit_b32 v10, s0, v10, 16
	v_pk_add_f16 v29, v29, v119
	v_pk_add_f16 v16, v16, v113
	v_alignbit_b32 v111, s0, v90, 16
	v_pk_fma_f16 v113, 0x3b47, v12, v18 op_sel:[0,0,1] op_sel_hi:[0,1,0] neg_lo:[0,1,0] neg_hi:[0,1,0]
	v_pk_fma_f16 v17, 0xba0c, v17, v19 op_sel:[0,0,1] op_sel_hi:[0,1,0]
	v_pk_add_f16 v10, v10, v117
	v_fmac_f16_e64 v130, 0xb93d, v15
	v_pk_add_f16 v29, v111, v29
	v_alignbit_b32 v111, s0, v113, 16
	v_pk_add_f16 v16, v17, v16
	v_pk_fma_f16 v12, 0x3b47, v12, v18 op_sel:[0,0,1] op_sel_hi:[0,1,0]
	v_pk_mul_f16 v15, 0xb08e, v15 op_sel_hi:[0,1]
	v_pk_mul_f16 v18, 0x3853b482, v13
	v_pk_add_f16 v10, v124, v10
	v_pk_add_f16 v17, v111, v29
	;; [unrolled: 1-line block ×3, first 2 shown]
	v_pk_fma_f16 v16, 0xbbeb, v13, v15 op_sel:[0,0,1] op_sel_hi:[0,1,0]
	v_pack_b32_f16 v29, v126, v123
	v_bfi_b32 v18, 0xffff, v122, v18
	v_mul_f16_e32 v26, 0x3b47, v26
	v_pk_add_f16 v10, v90, v10
	v_pk_fma_f16 v15, 0xbbeb, v13, v15 op_sel:[0,0,1] op_sel_hi:[0,1,0] neg_lo:[0,1,0] neg_hi:[0,1,0]
	v_mul_f16_e32 v13, 0xba0c, v13
	v_lshlrev_b32_e32 v90, 16, v109
	v_pk_add_f16 v12, v16, v12
	v_pk_add_f16 v16, v29, v18
	v_add_co_u32 v29, s0, v70, 55
	v_fma_f16 v18, v104, 0x36a6, -v26
	v_fmac_f16_e32 v26, 0x36a6, v104
	s_wait_alu 0xf1ff
	v_add_co_ci_u32_e64 v109, null, 0, 0, s0
	v_pk_add_f16 v13, v133, v13 neg_lo:[0,1] neg_hi:[0,1]
	v_pk_add_f16 v90, v132, v90
	v_mul_lo_u16 v109, v70, 11
	v_pk_add_f16 v10, v113, v10
	v_add_f16_e32 v26, v26, v85
	v_alignbit_b32 v85, s0, v15, 16
	v_add_f16_e64 v14, v134, v14
	v_add_f16_e32 v27, v18, v27
	v_and_b32_e32 v18, 0xffff, v109
	v_bfi_b32 v13, 0xffff, v13, v90
	v_add_f16_e64 v120, v128, v120
	v_pk_add_f16 v10, v15, v10
	v_pk_add_f16 v15, v85, v17
	v_add_f16_e64 v14, v130, v14
	v_lshlrev_b32_e32 v90, 2, v18
	v_pack_b32_f16 v17, v112, v127
	v_pk_add_f16 v13, v13, v16
	v_mul_u32_u24_e32 v85, 11, v29
	v_pack_b32_f16 v19, v118, v120
	v_pack_b32_f16 v16, v116, v125
	v_alignbit_b32 v10, v10, v12, 16
	v_pack_b32_f16 v12, v15, v12
	global_wb scope:SCOPE_SE
	s_wait_kmcnt 0x0
	s_barrier_signal -1
	s_barrier_wait -1
	global_inv scope:SCOPE_SE
	ds_store_2addr_b32 v90, v11, v17 offset1:7
	v_alignbit_b32 v11, v121, v13, 16
	v_pack_b32_f16 v13, v14, v13
	v_pack_b32_f16 v14, v108, v115
	ds_store_2addr_b32 v90, v110, v114 offset0:1 offset1:2
	ds_store_2addr_b32 v90, v16, v19 offset0:3 offset1:4
	;; [unrolled: 1-line block ×4, first 2 shown]
	ds_store_b32 v90, v14 offset:40
	s_and_saveexec_b32 s0, vcc_lo
	s_cbranch_execz .LBB0_7
; %bb.6:
	v_pk_add_f16 v3, v3, v2
	v_mul_f16_e32 v10, 0x3abb, v36
	v_mul_f16_e32 v11, 0x36a6, v36
	;; [unrolled: 1-line block ×4, first 2 shown]
	v_pk_mul_f16 v36, 0x3abbbbad, v36
	v_pk_add_f16 v3, v8, v3
	v_mul_f16_e32 v19, 0xbbad, v49
	v_alignbit_b32 v98, v98, v98, 16
	v_add_f16_e32 v14, v42, v14
	v_bfi_b32 v8, 0xffff, v30, v36
	v_pk_add_f16 v3, v9, v3
	v_mul_f16_e32 v12, 0x36a6, v46
	v_mul_f16_e32 v15, 0x36a6, v48
	v_mul_f16_e32 v17, 0xb93d, v49
	v_mul_f16_e32 v49, 0xbbad, v52
	v_mul_f16_e32 v52, 0x36a6, v52
	v_add_f16_e32 v14, v14, v88
	v_add_f16_e32 v19, v45, v19
	v_sub_f16_e32 v13, v13, v41
	v_alignbit_b32 v41, v99, v99, 16
	v_pk_add_f16 v8, v10, v8 neg_lo:[0,1] neg_hi:[0,1]
	v_pk_add_f16 v9, v98, v36
	v_bfi_b32 v10, 0xffff, v31, v97
	v_pk_add_f16 v3, v6, v3
	v_mul_f16_e32 v16, 0xb93d, v48
	v_mul_f16_e32 v18, 0xbbad, v48
	v_add_f16_e32 v12, v37, v12
	v_sub_f16_e32 v11, v11, v33
	v_mul_f16_e32 v46, 0xb08e, v51
	v_add_f16_e32 v14, v19, v14
	v_add_f16_e32 v19, v50, v52
	v_alignbit_b32 v50, v102, v102, 16
	v_bfi_b32 v6, 0xffff, v34, v96
	v_bfi_b32 v8, 0xffff, v8, v9
	v_pk_add_f16 v9, v15, v10 neg_lo:[0,1] neg_hi:[0,1]
	v_pk_add_f16 v10, v41, v97
	v_pk_add_f16 v3, v7, v3
	v_mul_f16_e32 v48, 0xbbad, v51
	v_mul_f16_e32 v51, 0x36a6, v51
	v_add_f16_e32 v13, v13, v2
	v_sub_f16_e32 v18, v18, v43
	v_add_f16_e32 v12, v12, v88
	v_add_f16_e32 v17, v40, v17
	;; [unrolled: 1-line block ×3, first 2 shown]
	v_sub_f16_e32 v16, v16, v32
	v_mul_f16_e32 v108, 0xb93d, v89
	v_alignbit_b32 v37, v105, v105, 16
	v_pk_add_f16 v6, v46, v6 neg_lo:[0,1] neg_hi:[0,1]
	v_pk_add_f16 v7, v50, v96
	v_bfi_b32 v15, 0xffff, v39, v94
	v_bfi_b32 v9, 0xffff, v9, v10
	v_pk_add_f16 v3, v4, v3
	v_pk_add_f16 v2, v8, v2
	v_mul_f16_e32 v109, 0xb08e, v89
	v_mul_f16_e32 v110, 0xb08e, v95
	;; [unrolled: 1-line block ×4, first 2 shown]
	v_add_f16_e32 v13, v18, v13
	v_sub_f16_e32 v18, v51, v47
	v_add_f16_e32 v12, v17, v12
	v_add_f16_e32 v17, v44, v49
	;; [unrolled: 1-line block ×3, first 2 shown]
	v_sub_f16_e32 v16, v48, v35
	v_mul_f16_e32 v42, 0xbbad, v104
	v_alignbit_b32 v40, v107, v107, 16
	v_bfi_b32 v4, 0xffff, v6, v7
	v_pk_add_f16 v6, v108, v15 neg_lo:[0,1] neg_hi:[0,1]
	v_pk_add_f16 v7, v37, v94
	v_pk_add_f16 v3, v5, v3
	;; [unrolled: 1-line block ×3, first 2 shown]
	v_bfi_b32 v5, 0xffff, v86, v100
	v_mul_f16_e32 v111, 0x3abb, v104
	v_mul_f16_e32 v112, 0x3abb, v106
	v_mul_f16_e32 v104, 0xb93d, v104
	v_mul_f16_e32 v45, 0xb93d, v106
	v_add_f16_e32 v14, v19, v14
	v_add_f16_e32 v19, v93, v95
	;; [unrolled: 1-line block ×3, first 2 shown]
	v_sub_f16_e32 v18, v89, v91
	v_add_f16_e32 v12, v17, v12
	v_add_f16_e32 v17, v53, v110
	;; [unrolled: 1-line block ×3, first 2 shown]
	v_sub_f16_e32 v8, v109, v38
	v_bfi_b32 v6, 0xffff, v6, v7
	v_pk_add_f16 v0, v0, v3
	v_pk_add_f16 v2, v4, v2
	v_pk_add_f16 v3, v42, v5 neg_lo:[0,1] neg_hi:[0,1]
	v_pk_add_f16 v4, v40, v100
	v_add_f16_e32 v14, v19, v14
	v_add_f16_e32 v19, v103, v45
	;; [unrolled: 1-line block ×3, first 2 shown]
	v_sub_f16_e32 v18, v104, v101
	v_add_f16_e32 v12, v17, v12
	v_add_f16_e32 v17, v92, v112
	v_add_f16_e32 v5, v8, v11
	v_sub_f16_e32 v7, v111, v87
	v_pk_add_f16 v0, v1, v0
	v_pk_add_f16 v1, v6, v2
	v_bfi_b32 v2, 0xffff, v3, v4
	v_add_f16_e32 v14, v19, v14
	v_add_f16_e32 v13, v18, v13
	v_add_f16_e32 v3, v17, v12
	v_add_f16_e32 v4, v7, v5
	v_lshlrev_b32_e32 v5, 2, v85
	v_pk_add_f16 v0, v25, v0
	v_pk_add_f16 v1, v2, v1
	v_pack_b32_f16 v2, v13, v14
	v_pack_b32_f16 v3, v4, v3
	v_perm_b32 v4, v82, v27, 0x5040100
	v_perm_b32 v6, v83, v28, 0x5040100
	v_alignbit_b32 v7, v84, v83, 16
	v_perm_b32 v8, v80, v23, 0x5040100
	v_perm_b32 v9, v81, v26, 0x5040100
	v_bfi_b32 v10, 0xffff, v78, v28
	v_perm_b32 v11, v79, v24, 0x5040100
	ds_store_2addr_b32 v5, v0, v1 offset1:1
	ds_store_2addr_b32 v5, v3, v2 offset0:2 offset1:3
	ds_store_b32 v5, v4 offset:16
	ds_store_2addr_b32 v5, v6, v7 offset0:5 offset1:6
	ds_store_2addr_b32 v5, v9, v8 offset0:7 offset1:8
	;; [unrolled: 1-line block ×3, first 2 shown]
.LBB0_7:
	s_wait_alu 0xfffe
	s_or_b32 exec_lo, exec_lo, s0
	v_and_b32_e32 v0, 0xff, v70
	v_and_b32_e32 v1, 0xff, v29
	v_add_co_u32 v30, null, 0x6e, v70
	global_wb scope:SCOPE_SE
	s_wait_dscnt 0x0
	v_mul_lo_u16 v0, 0x75, v0
	v_mul_lo_u16 v1, 0x75, v1
	v_and_b32_e32 v31, 0xff, v30
	s_barrier_signal -1
	s_barrier_wait -1
	v_lshrrev_b16 v0, 8, v0
	v_lshrrev_b16 v1, 8, v1
	v_mul_lo_u16 v4, 0x75, v31
	global_inv scope:SCOPE_SE
	v_add_nc_u32_e32 v46, 0x400, v54
	v_sub_nc_u16 v2, v70, v0
	v_sub_nc_u16 v3, v29, v1
	v_add_nc_u32_e32 v25, 0x800, v54
	v_add_nc_u32_e32 v44, 0x200, v54
	v_mul_lo_u16 v31, 0x95, v31
	v_lshrrev_b16 v2, 1, v2
	v_lshrrev_b16 v3, 1, v3
	v_lshlrev_b32_e32 v33, 4, v70
	s_delay_alu instid0(VALU_DEP_4) | instskip(NEXT) | instid1(VALU_DEP_4)
	v_lshrrev_b16 v31, 13, v31
	v_and_b32_e32 v2, 0x7f, v2
	s_delay_alu instid0(VALU_DEP_4) | instskip(NEXT) | instid1(VALU_DEP_3)
	v_and_b32_e32 v3, 0x7f, v3
	v_mul_lo_u16 v31, v31, 55
	s_delay_alu instid0(VALU_DEP_3) | instskip(SKIP_1) | instid1(VALU_DEP_4)
	v_add_nc_u16 v0, v2, v0
	v_lshrrev_b16 v2, 8, v4
	v_add_nc_u16 v1, v3, v1
	s_delay_alu instid0(VALU_DEP_4) | instskip(NEXT) | instid1(VALU_DEP_4)
	v_sub_nc_u16 v31, v30, v31
	v_lshrrev_b16 v32, 3, v0
	s_delay_alu instid0(VALU_DEP_4) | instskip(NEXT) | instid1(VALU_DEP_4)
	v_sub_nc_u16 v0, v30, v2
	v_lshrrev_b16 v40, 3, v1
	s_delay_alu instid0(VALU_DEP_3) | instskip(NEXT) | instid1(VALU_DEP_3)
	v_mul_lo_u16 v1, v32, 11
	v_lshrrev_b16 v0, 1, v0
	s_delay_alu instid0(VALU_DEP_3)
	v_mul_lo_u16 v3, v40, 11
	v_and_b32_e32 v86, 0xffff, v32
	v_and_b32_e32 v40, 0xffff, v40
	v_sub_nc_u16 v1, v70, v1
	v_and_b32_e32 v0, 0x7f, v0
	v_sub_nc_u16 v3, v29, v3
	v_and_b32_e32 v32, 0xff, v31
	v_mul_u32_u24_e32 v31, 55, v86
	v_and_b32_e32 v41, 0xff, v1
	v_add_nc_u16 v0, v0, v2
	v_and_b32_e32 v42, 0xff, v3
	v_mul_u32_u24_e32 v40, 55, v40
	v_lshlrev_b32_e32 v101, 4, v32
	v_lshlrev_b32_e32 v1, 4, v41
	v_lshrrev_b16 v43, 3, v0
	v_lshlrev_b32_e32 v0, 4, v42
	v_add_lshl_u32 v88, v31, v41, 2
	v_add_lshl_u32 v87, v40, v42, 2
	s_clause 0x1
	global_load_b128 v[8:11], v1, s[2:3]
	global_load_b128 v[4:7], v0, s[2:3]
	v_mul_lo_u16 v1, v43, 11
	v_and_b32_e32 v43, 0xffff, v43
	s_delay_alu instid0(VALU_DEP_2) | instskip(NEXT) | instid1(VALU_DEP_2)
	v_sub_nc_u16 v0, v30, v1
	v_mul_u32_u24_e32 v43, 55, v43
	s_delay_alu instid0(VALU_DEP_2) | instskip(NEXT) | instid1(VALU_DEP_1)
	v_and_b32_e32 v45, 0xff, v0
	v_lshlrev_b32_e32 v0, 4, v45
	s_delay_alu instid0(VALU_DEP_3)
	v_add_lshl_u32 v86, v43, v45, 2
	global_load_b128 v[0:3], v0, s[2:3]
	ds_load_2addr_b32 v[14:15], v54 offset1:55
	ds_load_2addr_b32 v[12:13], v54 offset0:110 offset1:165
	ds_load_b32 v47, v54 offset:3080
	ds_load_2addr_b32 v[16:17], v46 offset0:74 offset1:129
	ds_load_2addr_b32 v[18:19], v46 offset0:184 offset1:239
	;; [unrolled: 1-line block ×5, first 2 shown]
	global_wb scope:SCOPE_SE
	s_wait_loadcnt_dscnt 0x0
	s_barrier_signal -1
	s_barrier_wait -1
	global_inv scope:SCOPE_SE
	v_lshrrev_b32_e32 v52, 16, v47
	v_lshrrev_b32_e32 v53, 16, v16
	;; [unrolled: 1-line block ×23, first 2 shown]
	v_mul_f16_e32 v31, v49, v112
	v_mul_f16_e32 v40, v13, v112
	;; [unrolled: 1-line block ×16, first 2 shown]
	v_lshrrev_b32_e32 v107, 16, v0
	v_lshrrev_b32_e32 v105, 16, v1
	;; [unrolled: 1-line block ×4, first 2 shown]
	v_fma_f16 v13, v13, v8, -v31
	v_fmac_f16_e32 v40, v49, v8
	v_fma_f16 v16, v16, v9, -v41
	v_fmac_f16_e32 v42, v53, v9
	;; [unrolled: 2-line block ×8, first 2 shown]
	v_mul_f16_e32 v38, v97, v107
	v_mul_f16_e32 v41, v37, v107
	;; [unrolled: 1-line block ×8, first 2 shown]
	v_fma_f16 v37, v37, v0, -v38
	v_fmac_f16_e32 v41, v97, v0
	v_fma_f16 v18, v18, v1, -v43
	v_fmac_f16_e32 v49, v98, v1
	;; [unrolled: 2-line block ×3, first 2 shown]
	v_fma_f16 v39, v47, v3, -v91
	v_add_f16_e32 v43, v14, v13
	v_add_f16_e32 v47, v16, v19
	v_sub_f16_e32 v91, v13, v16
	v_sub_f16_e32 v93, v31, v19
	v_add_f16_e32 v95, v13, v31
	v_sub_f16_e32 v96, v16, v13
	v_sub_f16_e32 v97, v19, v31
	v_add_f16_e32 v98, v48, v40
	v_add_f16_e32 v100, v42, v45
	v_sub_f16_e32 v114, v40, v42
	v_sub_f16_e32 v116, v113, v45
	v_add_f16_e32 v118, v40, v113
	v_add_f16_e32 v123, v17, v36
	v_sub_f16_e32 v126, v34, v17
	v_sub_f16_e32 v127, v35, v36
	v_add_f16_e64 v131, v50, v115
	v_add_f16_e64 v132, v117, v119
	;; [unrolled: 1-line block ×3, first 2 shown]
	v_fmac_f16_e32 v92, v52, v3
	v_add_f16_e32 v122, v15, v34
	v_sub_f16_e64 v129, v17, v34
	v_sub_f16_e64 v130, v36, v35
	v_add_f16_e64 v128, v34, v35
	v_sub_f16_e32 v52, v40, v113
	v_sub_f16_e32 v53, v42, v45
	v_sub_f16_e32 v13, v13, v31
	v_sub_f16_e32 v103, v16, v19
	v_sub_f16_e32 v40, v42, v40
	v_sub_f16_e32 v120, v45, v113
	v_sub_f16_e32 v124, v115, v121
	v_sub_f16_e32 v125, v117, v119
	v_sub_f16_e64 v133, v17, v36
	v_sub_f16_e64 v134, v115, v117
	v_sub_f16_e32 v115, v117, v115
	v_add_f16_e32 v16, v43, v16
	v_fma_f16 v43, -0.5, v47, v14
	v_add_f16_e32 v47, v91, v93
	v_fma_f16 v14, -0.5, v95, v14
	v_add_f16_e32 v91, v96, v97
	v_add_f16_e32 v42, v98, v42
	v_fma_f16 v93, -0.5, v100, v48
	v_add_f16_e32 v95, v114, v116
	v_fmac_f16_e32 v48, -0.5, v118
	v_fma_f16 v96, -0.5, v123, v15
	v_add_f16_e32 v97, v126, v127
	v_add_f16_e64 v100, v131, v117
	v_fma_f16 v114, -0.5, v132, v50
	v_fmac_f16_e64 v50, -0.5, v136
	v_add_f16_e32 v117, v12, v37
	v_add_f16_e32 v118, v18, v38
	v_sub_f16_e32 v123, v37, v18
	v_sub_f16_e32 v126, v39, v38
	v_add_f16_e64 v131, v49, v89
	v_sub_f16_e64 v135, v121, v119
	v_add_f16_e32 v17, v122, v17
	v_add_f16_e64 v98, v129, v130
	v_add_f16_e32 v127, v37, v39
	v_add_f16_e64 v130, v51, v41
	v_add_f16_e64 v136, v41, v92
	v_sub_f16_e32 v34, v34, v35
	v_fmac_f16_e64 v15, -0.5, v128
	v_add_f16_e32 v40, v40, v120
	v_sub_f16_e32 v120, v41, v92
	v_sub_f16_e64 v128, v18, v37
	v_sub_f16_e32 v37, v37, v39
	v_sub_f16_e64 v132, v18, v38
	v_add_f16_e32 v16, v16, v19
	v_fmamk_f16 v19, v52, 0x3b9c, v43
	v_add_f16_e32 v42, v42, v45
	v_fmamk_f16 v45, v13, 0xbb9c, v93
	v_fma_f16 v141, 0x3b9c, v133, v50
	v_fmac_f16_e64 v50, 0xbb9c, v133
	v_add_f16_e32 v18, v117, v18
	v_fma_f16 v117, -0.5, v118, v12
	v_add_f16_e32 v118, v123, v126
	v_fma_f16 v126, -0.5, v131, v51
	v_sub_f16_e64 v137, v119, v121
	v_add_f16_e64 v116, v134, v135
	v_sub_f16_e32 v122, v49, v89
	v_sub_f16_e64 v134, v41, v49
	v_sub_f16_e32 v41, v49, v41
	v_fma_f16 v138, 0xbb9c, v53, v14
	v_fmac_f16_e32 v14, 0x3b9c, v53
	v_fma_f16 v139, 0x3b9c, v103, v48
	v_fmac_f16_e32 v48, 0xbb9c, v103
	v_add_f16_e32 v17, v17, v36
	v_fmac_f16_e32 v12, -0.5, v127
	v_add_f16_e64 v49, v130, v49
	v_fmac_f16_e64 v51, -0.5, v136
	v_fmac_f16_e32 v43, 0xbb9c, v52
	v_fmac_f16_e32 v93, 0x3b9c, v13
	v_fmamk_f16 v36, v124, 0x3b9c, v96
	v_fma_f16 v140, 0xbb9c, v125, v15
	v_fmac_f16_e32 v15, 0x3b9c, v125
	v_add_f16_e32 v100, v100, v119
	v_fmamk_f16 v119, v34, 0xbb9c, v114
	v_fmac_f16_e32 v96, 0xbb9c, v124
	v_fmac_f16_e32 v114, 0x3b9c, v34
	v_sub_f16_e64 v135, v92, v89
	v_add_f16_e32 v16, v16, v31
	v_fmac_f16_e32 v19, 0x38b4, v53
	v_add_f16_e32 v31, v42, v113
	v_fmac_f16_e32 v45, 0xb8b4, v103
	v_fmac_f16_e64 v141, 0xb8b4, v34
	v_fmac_f16_e32 v50, 0x38b4, v34
	v_fmamk_f16 v34, v120, 0x3b9c, v117
	v_fmamk_f16 v42, v37, 0xbb9c, v126
	v_add_f16_e64 v115, v115, v137
	v_sub_f16_e64 v129, v38, v39
	v_sub_f16_e64 v137, v89, v92
	v_fmac_f16_e64 v138, 0x38b4, v52
	v_fmac_f16_e32 v14, 0xb8b4, v52
	v_fmac_f16_e64 v139, 0xb8b4, v13
	v_fmac_f16_e32 v48, 0x38b4, v13
	v_add_f16_e32 v13, v17, v35
	v_add_f16_e32 v18, v18, v38
	v_fmamk_f16 v35, v122, 0xbb9c, v12
	v_fmac_f16_e32 v12, 0x3b9c, v122
	v_add_f16_e32 v38, v49, v89
	v_fma_f16 v49, 0x3b9c, v132, v51
	v_fmac_f16_e64 v51, 0xbb9c, v132
	v_fmac_f16_e32 v43, 0xb8b4, v53
	v_fmac_f16_e32 v93, 0x38b4, v103
	;; [unrolled: 1-line block ×5, first 2 shown]
	v_fmac_f16_e64 v140, 0x38b4, v124
	v_fmac_f16_e32 v15, 0xb8b4, v124
	v_fmac_f16_e64 v119, 0xb8b4, v133
	v_fmac_f16_e32 v96, 0xb8b4, v125
	v_fmac_f16_e64 v114, 0x38b4, v133
	v_add_f16_e64 v127, v134, v135
	v_add_f16_e32 v17, v100, v121
	v_fmac_f16_e32 v19, 0x34f2, v47
	v_fmac_f16_e32 v45, 0x34f2, v95
	;; [unrolled: 1-line block ×3, first 2 shown]
	v_fmac_f16_e64 v42, 0xb8b4, v132
	v_add_f16_e64 v123, v128, v129
	v_add_f16_e64 v41, v41, v137
	v_fmac_f16_e64 v138, 0x34f2, v91
	v_fmac_f16_e32 v14, 0x34f2, v91
	v_fmac_f16_e64 v139, 0x34f2, v40
	v_fmac_f16_e32 v48, 0x34f2, v40
	v_fmac_f16_e32 v35, 0x38b4, v120
	;; [unrolled: 1-line block ×8, first 2 shown]
	v_fmac_f16_e64 v126, 0x38b4, v132
	v_fmac_f16_e32 v36, 0x34f2, v97
	v_fmac_f16_e64 v140, 0x34f2, v98
	v_fmac_f16_e32 v15, 0x34f2, v98
	v_fmac_f16_e32 v119, 0x34f2, v116
	v_fmac_f16_e64 v141, 0x34f2, v115
	v_fmac_f16_e32 v50, 0x34f2, v115
	v_fmac_f16_e32 v96, 0x34f2, v97
	;; [unrolled: 1-line block ×3, first 2 shown]
	v_add_f16_e32 v18, v18, v39
	v_add_f16_e32 v38, v38, v92
	v_pack_b32_f16 v16, v16, v31
	v_pack_b32_f16 v13, v13, v17
	v_fmac_f16_e32 v34, 0x34f2, v118
	v_fmac_f16_e32 v42, 0x34f2, v127
	v_pack_b32_f16 v17, v19, v45
	v_fmac_f16_e32 v35, 0x34f2, v123
	v_fmac_f16_e32 v12, 0x34f2, v123
	v_fmac_f16_e32 v49, 0x34f2, v41
	v_fmac_f16_e32 v51, 0x34f2, v41
	v_pack_b32_f16 v19, v138, v139
	v_pack_b32_f16 v14, v14, v48
	v_fmac_f16_e32 v117, 0x34f2, v118
	v_fmac_f16_e32 v126, 0x34f2, v127
	v_pack_b32_f16 v31, v43, v93
	v_pack_b32_f16 v36, v36, v119
	;; [unrolled: 1-line block ×6, first 2 shown]
	ds_store_2addr_b32 v88, v16, v17 offset1:11
	ds_store_2addr_b32 v88, v19, v14 offset0:22 offset1:33
	ds_store_b32 v88, v31 offset:176
	ds_store_2addr_b32 v87, v13, v36 offset1:11
	v_pack_b32_f16 v13, v34, v42
	v_pack_b32_f16 v14, v35, v49
	;; [unrolled: 1-line block ×4, first 2 shown]
	ds_store_2addr_b32 v87, v37, v15 offset0:22 offset1:33
	ds_store_b32 v87, v39 offset:176
	ds_store_2addr_b32 v86, v18, v13 offset1:11
	ds_store_2addr_b32 v86, v14, v12 offset0:22 offset1:33
	ds_store_b32 v86, v16 offset:176
	global_wb scope:SCOPE_SE
	s_wait_dscnt 0x0
	s_barrier_signal -1
	s_barrier_wait -1
	global_inv scope:SCOPE_SE
	s_clause 0x1
	global_load_b128 v[16:19], v33, s[2:3] offset:176
	global_load_b128 v[12:15], v101, s[2:3] offset:176
	v_lshlrev_b32_e32 v43, 3, v29
	v_add_co_u32 v45, s0, s2, v33
	v_lshlrev_b32_e32 v51, 3, v30
	ds_load_2addr_b32 v[29:30], v54 offset1:55
	ds_load_2addr_b32 v[33:34], v54 offset0:110 offset1:165
	ds_load_2addr_b32 v[35:36], v46 offset0:74 offset1:129
	;; [unrolled: 1-line block ×6, first 2 shown]
	v_lshlrev_b32_e32 v89, 2, v32
	ds_load_b32 v32, v54 offset:3080
	v_lshlrev_b32_e32 v31, 3, v70
	s_wait_alu 0xf1ff
	v_add_co_ci_u32_e64 v50, null, s3, 0, s0
	global_wb scope:SCOPE_SE
	s_wait_loadcnt_dscnt 0x0
	s_barrier_signal -1
	v_sub_co_u32 v49, s0, v45, v31
	s_wait_alu 0xf1ff
	v_subrev_co_ci_u32_e64 v50, s0, 0, v50, s0
	v_add_nc_u32_e32 v45, 0x800, v89
	s_barrier_wait -1
	v_lshrrev_b32_e32 v52, 16, v29
	v_lshrrev_b32_e32 v53, 16, v34
	;; [unrolled: 1-line block ×15, first 2 shown]
	global_inv scope:SCOPE_SE
	s_add_nc_u64 s[0:1], s[12:13], 0xce4
	v_lshrrev_b32_e32 v120, 16, v16
	v_lshrrev_b32_e32 v119, 16, v17
	;; [unrolled: 1-line block ×8, first 2 shown]
	v_mul_f16_e32 v124, v53, v120
	v_mul_f16_e32 v125, v34, v120
	;; [unrolled: 1-line block ×4, first 2 shown]
	v_mul_f16_e64 v128, v92, v118
	v_mul_f16_e64 v129, v38, v118
	;; [unrolled: 1-line block ×20, first 2 shown]
	v_fma_f16 v34, v34, v16, -v124
	v_fmac_f16_e32 v125, v53, v16
	v_fma_f16 v35, v35, v17, -v126
	v_fmac_f16_e32 v127, v91, v17
	v_fma_f16 v38, v38, v18, -v128
	v_fmac_f16_e64 v129, v92, v18
	v_fma_f16 v39, v39, v19, -v130
	v_fmac_f16_e64 v131, v93, v19
	;; [unrolled: 2-line block ×10, first 2 shown]
	v_add_f16_e32 v53, v29, v34
	v_add_f16_e32 v91, v35, v38
	v_sub_f16_e32 v96, v34, v35
	v_sub_f16_e32 v97, v39, v38
	v_add_f16_e32 v98, v34, v39
	v_add_f16_e32 v121, v52, v125
	v_add_f16_e64 v122, v127, v129
	v_add_f16_e64 v128, v125, v131
	v_sub_f16_e64 v92, v125, v131
	v_sub_f16_e32 v100, v35, v34
	v_sub_f16_e32 v103, v38, v39
	;; [unrolled: 1-line block ×3, first 2 shown]
	v_sub_f16_e64 v126, v131, v129
	v_sub_f16_e32 v125, v127, v125
	v_sub_f16_e64 v130, v129, v131
	v_add_f16_e64 v132, v30, v41
	v_add_f16_e64 v134, v36, v47
	;; [unrolled: 1-line block ×10, first 2 shown]
	v_sub_f16_e32 v34, v34, v39
	v_sub_f16_e32 v123, v35, v38
	v_add_f16_e64 v156, v33, v42
	v_add_f16_e64 v165, v101, v141
	v_add_f16_e32 v35, v53, v35
	v_fma_f16 v53, -0.5, v91, v29
	v_add_f16_e32 v91, v96, v97
	v_fma_f16 v29, -0.5, v98, v29
	;; [unrolled: 2-line block ×3, first 2 shown]
	v_sub_f16_e64 v93, v127, v129
	v_sub_f16_e64 v140, v41, v36
	;; [unrolled: 1-line block ×3, first 2 shown]
	v_fmac_f16_e64 v52, -0.5, v128
	v_sub_f16_e64 v136, v133, v139
	v_sub_f16_e64 v138, v135, v137
	;; [unrolled: 1-line block ×4, first 2 shown]
	v_sub_f16_e32 v41, v41, v40
	v_sub_f16_e64 v151, v36, v47
	v_add_f16_e32 v96, v100, v103
	v_add_f16_e32 v100, v124, v126
	v_add_f16_e64 v103, v125, v130
	v_add_f16_e64 v36, v132, v36
	v_fma_f16 v121, -0.5, v134, v30
	v_fmac_f16_e64 v30, -0.5, v144
	v_add_f16_e64 v125, v149, v135
	v_fma_f16 v126, -0.5, v150, v95
	v_fmac_f16_e64 v95, -0.5, v154
	v_sub_f16_e64 v152, v133, v135
	v_sub_f16_e64 v133, v135, v133
	;; [unrolled: 1-line block ×4, first 2 shown]
	v_fma_f16 v130, -0.5, v157, v33
	v_fmac_f16_e64 v33, -0.5, v162
	v_fma_f16 v135, -0.5, v166, v101
	v_fmac_f16_e64 v101, -0.5, v170
	v_sub_f16_e64 v158, v141, v147
	v_sub_f16_e64 v160, v42, v37
	;; [unrolled: 1-line block ×3, first 2 shown]
	v_sub_f16_e32 v42, v42, v32
	v_add_f16_e64 v37, v156, v37
	v_add_f16_e64 v134, v165, v143
	v_add_f16_e32 v35, v35, v38
	v_fmamk_f16 v38, v92, 0x3b9c, v53
	v_add_f16_e64 v97, v97, v129
	v_fma_f16 v129, 0xbb9c, v34, v98
	v_sub_f16_e64 v168, v141, v143
	v_sub_f16_e64 v141, v143, v141
	v_add_f16_e64 v122, v140, v142
	v_fma_f16 v142, 0xbb9c, v93, v29
	v_fmac_f16_e32 v29, 0x3b9c, v93
	v_fma_f16 v143, 0x3b9c, v123, v52
	v_fmac_f16_e32 v52, 0xbb9c, v123
	v_fmac_f16_e32 v53, 0xbb9c, v92
	;; [unrolled: 1-line block ×3, first 2 shown]
	v_sub_f16_e64 v153, v139, v137
	v_sub_f16_e64 v155, v137, v139
	v_add_f16_e64 v124, v146, v148
	v_add_f16_e32 v36, v36, v47
	v_fma_f16 v47, 0x3b9c, v136, v121
	v_fma_f16 v144, 0xbb9c, v138, v30
	v_add_f16_e64 v125, v125, v137
	v_fma_f16 v137, 0xbb9c, v41, v126
	v_fma_f16 v146, 0x3b9c, v151, v95
	v_sub_f16_e64 v164, v48, v32
	v_sub_f16_e64 v171, v145, v147
	v_fmac_f16_e64 v121, 0xbb9c, v136
	v_fmac_f16_e64 v30, 0x3b9c, v138
	v_fmac_f16_e32 v126, 0x3b9c, v41
	v_fmac_f16_e64 v95, 0xbb9c, v151
	v_fma_f16 v148, 0xbb9c, v159, v33
	v_fmac_f16_e64 v33, 0x3b9c, v159
	v_fma_f16 v149, 0x3b9c, v167, v101
	v_fmac_f16_e64 v101, 0xbb9c, v167
	v_sub_f16_e64 v161, v32, v48
	v_sub_f16_e64 v169, v147, v145
	v_add_f16_e32 v37, v37, v48
	v_fma_f16 v48, 0x3b9c, v158, v130
	v_fmac_f16_e64 v130, 0xbb9c, v158
	v_add_f16_e64 v134, v134, v145
	v_fma_f16 v145, 0xbb9c, v42, v135
	v_fmac_f16_e64 v135, 0x3b9c, v42
	v_fmac_f16_e32 v38, 0x38b4, v93
	v_fmac_f16_e64 v129, 0xb8b4, v123
	v_fmac_f16_e64 v142, 0x38b4, v92
	v_fmac_f16_e32 v29, 0xb8b4, v92
	v_fmac_f16_e64 v143, 0xb8b4, v34
	v_fmac_f16_e32 v52, 0x38b4, v34
	v_fmac_f16_e32 v53, 0xb8b4, v93
	;; [unrolled: 1-line block ×3, first 2 shown]
	v_add_f16_e64 v127, v152, v153
	v_add_f16_e64 v128, v133, v155
	v_fmac_f16_e64 v47, 0x38b4, v138
	v_fmac_f16_e64 v144, 0x38b4, v136
	;; [unrolled: 1-line block ×4, first 2 shown]
	v_add_f16_e64 v133, v163, v164
	v_add_f16_e64 v141, v141, v171
	v_fmac_f16_e64 v121, 0xb8b4, v138
	v_fmac_f16_e64 v30, 0xb8b4, v136
	;; [unrolled: 1-line block ×3, first 2 shown]
	v_fmac_f16_e32 v95, 0x38b4, v41
	v_fmac_f16_e64 v33, 0xb8b4, v158
	v_fmac_f16_e32 v101, 0x38b4, v42
	v_add_f16_e64 v132, v160, v161
	v_add_f16_e64 v140, v168, v169
	v_add_f16_e32 v35, v35, v39
	v_add_f16_e64 v39, v97, v131
	v_add_f16_e32 v34, v36, v40
	v_add_f16_e64 v36, v125, v139
	v_fmac_f16_e64 v48, 0x38b4, v159
	v_fmac_f16_e64 v130, 0xb8b4, v159
	v_fmac_f16_e64 v148, 0x38b4, v158
	v_fmac_f16_e64 v145, 0xb8b4, v167
	v_fmac_f16_e64 v135, 0x38b4, v167
	v_fmac_f16_e64 v149, 0xb8b4, v42
	v_fmac_f16_e32 v38, 0x34f2, v91
	v_fmac_f16_e64 v129, 0x34f2, v100
	v_add_f16_e32 v32, v37, v32
	v_add_f16_e64 v37, v134, v147
	v_fmac_f16_e64 v142, 0x34f2, v96
	v_fmac_f16_e32 v29, 0x34f2, v96
	v_fmac_f16_e64 v143, 0x34f2, v103
	v_fmac_f16_e32 v52, 0x34f2, v103
	v_fmac_f16_e32 v53, 0x34f2, v91
	;; [unrolled: 1-line block ×4, first 2 shown]
	v_fmac_f16_e64 v144, 0x34f2, v124
	v_fmac_f16_e64 v137, 0x34f2, v127
	;; [unrolled: 1-line block ×3, first 2 shown]
	v_fmac_f16_e32 v121, 0x34f2, v122
	v_fmac_f16_e32 v30, 0x34f2, v124
	;; [unrolled: 1-line block ×3, first 2 shown]
	v_fmac_f16_e64 v95, 0x34f2, v128
	v_fmac_f16_e64 v33, 0x34f2, v133
	;; [unrolled: 1-line block ×9, first 2 shown]
	v_pack_b32_f16 v35, v35, v39
	v_pack_b32_f16 v34, v34, v36
	;; [unrolled: 1-line block ×15, first 2 shown]
	ds_store_2addr_b32 v54, v35, v36 offset1:55
	ds_store_2addr_b32 v54, v37, v29 offset0:110 offset1:165
	ds_store_2addr_b32 v44, v38, v34 offset0:92 offset1:147
	;; [unrolled: 1-line block ×6, first 2 shown]
	ds_store_b32 v89, v48 offset:3080
	global_wb scope:SCOPE_SE
	s_wait_dscnt 0x0
	s_barrier_signal -1
	s_barrier_wait -1
	global_inv scope:SCOPE_SE
	s_clause 0x1
	global_load_b64 v[33:34], v[49:50], off offset:1056
	global_load_b64 v[35:36], v43, s[2:3] offset:1056
	v_add_nc_u32_e32 v29, 0x528, v31
	v_add_nc_u32_e32 v30, 0x6e0, v31
	s_clause 0x2
	global_load_b64 v[37:38], v51, s[2:3] offset:1056
	global_load_b64 v[31:32], v29, s[2:3] offset:1056
	;; [unrolled: 1-line block ×3, first 2 shown]
	ds_load_2addr_b32 v[47:48], v54 offset1:55
	ds_load_2addr_b32 v[41:42], v44 offset0:92 offset1:147
	ds_load_2addr_b32 v[49:50], v25 offset0:38 offset1:93
	;; [unrolled: 1-line block ×6, first 2 shown]
	ds_load_b32 v43, v54 offset:3080
	s_wait_dscnt 0x7
	v_lshrrev_b32_e32 v45, 16, v47
	s_wait_dscnt 0x6
	v_lshrrev_b32_e32 v53, 16, v42
	s_wait_dscnt 0x5
	v_lshrrev_b32_e32 v127, 16, v49
	s_wait_dscnt 0x4
	v_lshrrev_b32_e32 v129, 16, v51
	v_lshrrev_b32_e32 v130, 16, v50
	v_lshrrev_b32_e32 v132, 16, v52
	s_wait_dscnt 0x2
	v_lshrrev_b32_e32 v133, 16, v123
	s_wait_dscnt 0x1
	v_lshrrev_b32_e32 v134, 16, v125
	v_lshrrev_b32_e32 v135, 16, v124
	v_lshrrev_b32_e32 v136, 16, v126
	s_wait_dscnt 0x0
	v_lshrrev_b32_e32 v137, 16, v43
	v_lshrrev_b32_e32 v128, 16, v48
	;; [unrolled: 1-line block ×5, first 2 shown]
	s_wait_loadcnt 0x4
	v_lshrrev_b32_e32 v103, 16, v33
	v_lshrrev_b32_e32 v101, 16, v34
	s_wait_loadcnt 0x3
	v_lshrrev_b32_e32 v100, 16, v35
	v_lshrrev_b32_e32 v98, 16, v36
	;; [unrolled: 3-line block ×5, first 2 shown]
	v_mul_f16_e64 v138, v53, v103
	v_mul_f16_e64 v139, v42, v103
	v_mul_f16_e64 v140, v127, v101
	v_mul_f16_e64 v141, v49, v101
	v_mul_f16_e64 v142, v129, v100
	v_mul_f16_e64 v143, v51, v100
	v_mul_f16_e64 v144, v130, v98
	v_mul_f16_e64 v145, v50, v98
	v_mul_f16_e64 v146, v132, v97
	v_mul_f16_e64 v147, v52, v97
	v_mul_f16_e64 v148, v133, v96
	v_mul_f16_e64 v149, v123, v96
	v_mul_f16_e64 v150, v134, v95
	v_mul_f16_e64 v151, v125, v95
	v_mul_f16_e64 v152, v135, v93
	v_mul_f16_e64 v153, v124, v93
	v_mul_f16_e64 v154, v136, v92
	v_mul_f16_e64 v155, v126, v92
	v_mul_f16_e64 v156, v137, v91
	v_mul_f16_e64 v157, v43, v91
	v_fma_f16 v42, v42, v33, -v138
	v_fmac_f16_e64 v139, v53, v33
	v_fma_f16 v49, v49, v34, -v140
	v_fmac_f16_e64 v141, v127, v34
	;; [unrolled: 2-line block ×10, first 2 shown]
	v_add_f16_e32 v127, v42, v49
	v_add_f16_e64 v132, v139, v141
	v_add_f16_e32 v126, v47, v42
	v_sub_f16_e64 v129, v139, v141
	v_add_f16_e64 v130, v45, v139
	v_add_f16_e64 v134, v51, v50
	v_sub_f16_e64 v135, v143, v145
	v_add_f16_e64 v136, v128, v143
	v_add_f16_e64 v137, v143, v145
	;; [unrolled: 1-line block ×7, first 2 shown]
	v_sub_f16_e64 v154, v155, v157
	v_add_f16_e64 v156, v122, v155
	v_add_f16_e64 v155, v155, v157
	v_sub_f16_e32 v42, v42, v49
	v_add_f16_e64 v133, v48, v51
	v_fma_f16 v47, -0.5, v127, v47
	v_fmac_f16_e64 v45, -0.5, v132
	v_sub_f16_e32 v51, v51, v50
	v_add_f16_e64 v138, v39, v52
	v_sub_f16_e64 v140, v147, v149
	v_add_f16_e64 v142, v131, v147
	v_sub_f16_e32 v52, v52, v53
	v_add_f16_e32 v49, v126, v49
	v_add_f16_e64 v126, v130, v141
	v_fmac_f16_e64 v48, -0.5, v134
	v_fmac_f16_e64 v128, -0.5, v137
	v_fma_f16 v130, -0.5, v139, v39
	v_fmac_f16_e64 v131, -0.5, v143
	v_add_f16_e64 v144, v40, v123
	v_sub_f16_e64 v147, v151, v153
	v_add_f16_e64 v148, v121, v151
	v_sub_f16_e64 v151, v123, v124
	v_add_f16_e32 v123, v41, v125
	v_sub_f16_e32 v125, v125, v43
	v_fmac_f16_e64 v40, -0.5, v146
	v_fmac_f16_e64 v121, -0.5, v150
	;; [unrolled: 1-line block ×4, first 2 shown]
	v_add_f16_e64 v50, v133, v50
	v_add_f16_e64 v127, v136, v145
	v_fma_f16 v136, 0x3aee, v129, v47
	v_fmac_f16_e64 v47, 0xbaee, v129
	v_fma_f16 v129, 0xbaee, v42, v45
	v_fmac_f16_e32 v45, 0x3aee, v42
	v_fma_f16 v42, 0x3aee, v135, v48
	v_fmac_f16_e64 v48, 0xbaee, v135
	v_fma_f16 v135, 0xbaee, v51, v128
	v_fmac_f16_e64 v128, 0x3aee, v51
	v_fma_f16 v51, 0x3aee, v140, v130
	v_fma_f16 v137, 0xbaee, v52, v131
	v_add_f16_e64 v53, v138, v53
	v_add_f16_e64 v132, v142, v149
	;; [unrolled: 1-line block ×3, first 2 shown]
	v_fmac_f16_e64 v130, 0xbaee, v140
	v_fmac_f16_e64 v131, 0x3aee, v52
	v_fma_f16 v52, 0x3aee, v147, v40
	v_fmac_f16_e64 v40, 0xbaee, v147
	v_fma_f16 v138, 0xbaee, v151, v121
	v_fmac_f16_e64 v121, 0x3aee, v151
	v_fma_f16 v39, 0x3aee, v154, v41
	v_fmac_f16_e64 v41, 0xbaee, v154
	v_fmamk_f16 v124, v125, 0xbaee, v122
	v_fmac_f16_e32 v122, 0x3aee, v125
	v_add_f16_e64 v134, v148, v153
	v_add_f16_e32 v43, v123, v43
	v_add_f16_e64 v123, v156, v157
	v_pack_b32_f16 v50, v50, v127
	v_pack_b32_f16 v127, v136, v129
	;; [unrolled: 1-line block ×15, first 2 shown]
	ds_store_b32 v54, v127 offset:1100
	ds_store_b32 v54, v45 offset:2200
	ds_store_2addr_b32 v54, v49, v50 offset1:55
	ds_store_2addr_b32 v46, v42, v48 offset0:74 offset1:129
	ds_store_2addr_b32 v25, v47, v51 offset0:93 offset1:148
	;; [unrolled: 1-line block ×3, first 2 shown]
	ds_store_b32 v54, v128 offset:2860
	ds_store_b32 v54, v126 offset:880
	ds_store_2addr_b32 v46, v52, v129 offset0:184 offset1:239
	ds_store_b32 v54, v130 offset:3080
	global_wb scope:SCOPE_SE
	s_wait_dscnt 0x0
	s_barrier_signal -1
	s_barrier_wait -1
	global_inv scope:SCOPE_SE
	s_clause 0xa
	global_load_b32 v42, v[20:21], off offset:3300
	global_load_b32 v45, v54, s[0:1] offset:300
	global_load_b32 v53, v54, s[0:1] offset:900
	;; [unrolled: 1-line block ×10, first 2 shown]
	ds_load_2addr_b32 v[47:48], v54 offset1:75
	s_wait_dscnt 0x0
	v_lshrrev_b32_e32 v49, 16, v47
	v_lshrrev_b32_e32 v51, 16, v48
	s_wait_loadcnt 0xa
	v_lshrrev_b32_e32 v50, 16, v42
	s_wait_loadcnt 0x9
	;; [unrolled: 2-line block ×4, first 2 shown]
	v_lshrrev_b32_e32 v136, 16, v128
	v_mul_f16_e32 v125, v49, v50
	v_mul_f16_e32 v50, v47, v50
	;; [unrolled: 1-line block ×4, first 2 shown]
	s_wait_loadcnt 0x3
	v_lshrrev_b32_e32 v139, 16, v131
	v_fma_f16 v47, v47, v42, -v125
	v_fmac_f16_e32 v50, v49, v42
	v_fma_f16 v42, v48, v45, -v126
	v_fmac_f16_e32 v52, v51, v45
	v_lshrrev_b32_e32 v137, 16, v129
	v_lshrrev_b32_e32 v138, 16, v130
	v_pack_b32_f16 v45, v47, v50
	s_wait_loadcnt 0x2
	v_lshrrev_b32_e32 v141, 16, v132
	v_pack_b32_f16 v42, v42, v52
	s_wait_loadcnt 0x1
	v_lshrrev_b32_e32 v142, 16, v133
	s_wait_loadcnt 0x0
	v_lshrrev_b32_e32 v143, 16, v134
	ds_store_2addr_b32 v54, v45, v42 offset1:75
	v_add_nc_u32_e32 v42, 0x600, v54
	ds_load_2addr_b32 v[47:48], v54 offset0:150 offset1:225
	ds_load_2addr_b32 v[49:50], v46 offset0:44 offset1:119
	ds_load_2addr_b32 v[51:52], v42 offset0:66 offset1:141
	ds_load_2addr_b32 v[125:126], v25 offset0:88 offset1:163
	ds_load_b32 v140, v54 offset:3000
	v_lshrrev_b32_e32 v45, 16, v53
	s_wait_dscnt 0x4
	v_lshrrev_b32_e32 v144, 16, v47
	v_lshrrev_b32_e32 v146, 16, v48
	s_wait_dscnt 0x3
	v_lshrrev_b32_e32 v148, 16, v49
	;; [unrolled: 3-line block ×5, first 2 shown]
	v_mul_f16_e64 v145, v47, v139
	v_mul_f16_e64 v147, v48, v45
	;; [unrolled: 1-line block ×18, first 2 shown]
	v_fmac_f16_e64 v145, v144, v131
	v_fmac_f16_e64 v147, v146, v53
	v_fma_f16 v47, v47, v131, -v139
	v_fma_f16 v45, v48, v53, -v45
	v_fmac_f16_e64 v149, v148, v127
	v_fmac_f16_e64 v151, v150, v128
	v_fma_f16 v48, v49, v127, -v135
	v_fma_f16 v49, v50, v128, -v136
	;; [unrolled: 4-line block ×4, first 2 shown]
	v_fmac_f16_e64 v161, v160, v134
	v_fma_f16 v125, v140, v134, -v143
	v_pack_b32_f16 v47, v47, v145
	v_pack_b32_f16 v45, v45, v147
	v_pack_b32_f16 v48, v48, v149
	v_pack_b32_f16 v49, v49, v151
	v_pack_b32_f16 v50, v50, v153
	v_pack_b32_f16 v51, v51, v155
	v_pack_b32_f16 v52, v52, v157
	v_pack_b32_f16 v53, v53, v159
	v_pack_b32_f16 v125, v125, v161
	ds_store_2addr_b32 v54, v47, v45 offset0:150 offset1:225
	ds_store_2addr_b32 v46, v48, v49 offset0:44 offset1:119
	ds_store_2addr_b32 v42, v50, v51 offset0:66 offset1:141
	ds_store_2addr_b32 v25, v52, v53 offset0:88 offset1:163
	ds_store_b32 v54, v125 offset:3000
	s_and_saveexec_b32 s2, vcc_lo
	s_cbranch_execz .LBB0_9
; %bb.8:
	s_wait_alu 0xfffe
	v_add_co_u32 v47, s0, s0, v54
	s_wait_alu 0xf1ff
	v_add_co_ci_u32_e64 v48, null, s1, 0, s0
	s_clause 0xa
	global_load_b32 v45, v[47:48], off offset:220
	global_load_b32 v53, v[47:48], off offset:520
	;; [unrolled: 1-line block ×11, first 2 shown]
	ds_load_2addr_b32 v[47:48], v54 offset0:55 offset1:130
	ds_load_2addr_b32 v[49:50], v44 offset0:77 offset1:152
	;; [unrolled: 1-line block ×5, first 2 shown]
	ds_load_b32 v138, v54 offset:3220
	s_wait_dscnt 0x5
	v_lshrrev_b32_e32 v139, 16, v47
	v_lshrrev_b32_e32 v140, 16, v48
	s_wait_dscnt 0x4
	v_lshrrev_b32_e32 v141, 16, v49
	v_lshrrev_b32_e32 v142, 16, v50
	;; [unrolled: 3-line block ×5, first 2 shown]
	s_wait_dscnt 0x0
	v_lshrrev_b32_e32 v149, 16, v138
	s_wait_loadcnt 0xa
	v_lshrrev_b32_e32 v150, 16, v45
	s_wait_loadcnt 0x9
	;; [unrolled: 2-line block ×11, first 2 shown]
	v_lshrrev_b32_e32 v160, 16, v137
	v_mul_f16_e64 v161, v139, v150
	v_mul_f16_e64 v150, v47, v150
	;; [unrolled: 1-line block ×22, first 2 shown]
	v_fma_f16 v47, v47, v45, -v161
	v_fmac_f16_e64 v150, v139, v45
	v_fma_f16 v45, v48, v53, -v162
	v_fmac_f16_e64 v151, v140, v53
	v_fma_f16 v48, v49, v129, -v163
	v_fmac_f16_e64 v152, v141, v129
	v_fma_f16 v49, v50, v130, -v164
	v_fmac_f16_e64 v153, v142, v130
	v_fma_f16 v50, v51, v131, -v165
	v_fmac_f16_e64 v154, v143, v131
	v_fma_f16 v51, v52, v132, -v166
	v_fmac_f16_e64 v155, v144, v132
	v_fma_f16 v52, v125, v133, -v167
	v_fmac_f16_e64 v156, v145, v133
	v_fma_f16 v53, v126, v134, -v168
	v_fmac_f16_e64 v157, v146, v134
	v_fma_f16 v125, v127, v135, -v169
	v_fmac_f16_e64 v158, v147, v135
	v_fma_f16 v126, v128, v136, -v170
	v_fmac_f16_e64 v159, v148, v136
	v_fma_f16 v127, v138, v137, -v171
	v_fmac_f16_e64 v160, v149, v137
	v_pack_b32_f16 v47, v47, v150
	v_pack_b32_f16 v45, v45, v151
	;; [unrolled: 1-line block ×11, first 2 shown]
	ds_store_2addr_b32 v54, v47, v45 offset0:55 offset1:130
	ds_store_2addr_b32 v44, v48, v49 offset0:77 offset1:152
	;; [unrolled: 1-line block ×5, first 2 shown]
	ds_store_b32 v54, v127 offset:3220
.LBB0_9:
	s_wait_alu 0xfffe
	s_or_b32 exec_lo, exec_lo, s2
	global_wb scope:SCOPE_SE
	s_wait_dscnt 0x0
	s_barrier_signal -1
	s_barrier_wait -1
	global_inv scope:SCOPE_SE
	ds_load_2addr_b32 v[44:45], v54 offset1:75
	ds_load_2addr_b32 v[50:51], v54 offset0:150 offset1:225
	ds_load_2addr_b32 v[46:47], v46 offset0:44 offset1:119
	;; [unrolled: 1-line block ×4, first 2 shown]
	ds_load_b32 v125, v54 offset:3000
	v_lshrrev_b32_e32 v25, 16, v83
	s_and_saveexec_b32 s0, vcc_lo
	s_cbranch_execz .LBB0_11
; %bb.10:
	ds_load_2addr_b32 v[42:43], v54 offset0:55 offset1:130
	v_add_nc_u32_e32 v23, 0x200, v54
	v_add_nc_u32_e32 v25, 0x600, v54
	ds_load_2addr_b32 v[39:40], v23 offset0:77 offset1:152
	v_add_nc_u32_e32 v24, 0x400, v54
	v_add_nc_u32_e32 v23, 0x800, v54
	s_wait_dscnt 0x1
	v_lshrrev_b32_e32 v121, 16, v42
	v_lshrrev_b32_e32 v123, 16, v43
	s_wait_dscnt 0x0
	v_mov_b32_e32 v41, v40
	ds_load_2addr_b32 v[27:28], v24 offset0:99 offset1:174
	ds_load_2addr_b32 v[25:26], v25 offset0:121 offset1:196
	;; [unrolled: 1-line block ×3, first 2 shown]
	ds_load_b32 v78, v54 offset:3220
	v_lshrrev_b32_e32 v124, 16, v39
	v_lshrrev_b32_e32 v122, 16, v40
	v_mov_b32_e32 v40, v42
	s_wait_dscnt 0x3
	v_lshrrev_b32_e32 v82, 16, v27
	v_lshrrev_b32_e32 v83, 16, v28
	s_wait_dscnt 0x2
	v_lshrrev_b32_e32 v84, 16, v25
	v_lshrrev_b32_e32 v81, 16, v26
	;; [unrolled: 3-line block ×3, first 2 shown]
	s_wait_dscnt 0x0
	v_bfi_b32 v28, 0xffff, v28, v78
.LBB0_11:
	s_wait_alu 0xfffe
	s_or_b32 exec_lo, exec_lo, s0
	s_wait_dscnt 0x5
	v_pk_add_f16 v42, v44, v45
	s_wait_dscnt 0x0
	v_pk_add_f16 v126, v45, v125 neg_lo:[0,1] neg_hi:[0,1]
	v_pk_add_f16 v45, v125, v45
	v_pk_add_f16 v129, v50, v53 neg_lo:[0,1] neg_hi:[0,1]
	v_lshrrev_b32_e32 v127, 16, v44
	v_pk_add_f16 v42, v42, v50
	v_pk_mul_f16 v128, 0xb853, v126 op_sel_hi:[0,1]
	v_lshrrev_b32_e32 v130, 16, v126
	v_lshrrev_b32_e32 v131, 16, v45
	v_pk_add_f16 v50, v53, v50
	v_pk_add_f16 v42, v42, v51
	v_pk_fma_f16 v132, 0x3abb, v45, v128 op_sel:[0,0,1] op_sel_hi:[0,1,0]
	v_pk_fma_f16 v128, 0x3abb, v45, v128 op_sel:[0,0,1] op_sel_hi:[0,1,0] neg_lo:[0,0,1] neg_hi:[0,0,1]
	v_mul_f16_e64 v133, 0xbb47, v130
	v_lshrrev_b32_e32 v143, 16, v129
	v_pk_add_f16 v42, v42, v46
	v_mul_f16_e64 v134, 0x36a6, v131
	v_mul_f16_e64 v136, 0xb08e, v131
	;; [unrolled: 1-line block ×3, first 2 shown]
	v_bfi_b32 v137, 0xffff, v132, v128
	v_pk_add_f16 v42, v42, v47
	v_fma_f16 v138, 0x36a6, v45, v133
	v_mul_f16_e64 v145, 0xba0c, v143
	v_lshrrev_b32_e32 v146, 16, v50
	v_mul_f16_e64 v135, 0xbbeb, v130
	v_pk_add_f16 v42, v42, v48
	v_fma_f16 v139, 0x3b47, v126, v134
	v_fma_f16 v133, v45, 0x36a6, -v133
	v_fmac_f16_e64 v134, 0xbb47, v126
	v_fma_f16 v141, 0x3beb, v126, v136
	v_pk_add_f16 v42, v42, v49
	v_fmac_f16_e64 v136, 0xbbeb, v126
	v_pk_add_f16 v137, v44, v137
	v_add_f16_e64 v138, v44, v138
	v_fma_f16 v142, 0x3a0c, v126, v131
	v_pk_add_f16 v42, v42, v52
	v_fmac_f16_e64 v131, 0xba0c, v126
	v_fma_f16 v148, 0xb93d, v50, v145
	v_mul_f16_e64 v149, 0xb93d, v146
	v_fma_f16 v140, 0xb08e, v45, v135
	v_pk_add_f16 v42, v42, v53
	v_pk_mul_f16 v53, 0xbb47, v129 op_sel_hi:[0,1]
	v_fma_f16 v135, v45, 0xb08e, -v135
	v_add_f16_e64 v139, v127, v139
	v_add_f16_e64 v133, v44, v133
	;; [unrolled: 1-line block ×3, first 2 shown]
	v_pk_fma_f16 v144, 0x36a6, v50, v53 op_sel:[0,0,1] op_sel_hi:[0,1,0]
	v_pk_fma_f16 v53, 0x36a6, v50, v53 op_sel:[0,0,1] op_sel_hi:[0,1,0] neg_lo:[0,0,1] neg_hi:[0,0,1]
	v_add_f16_e64 v141, v127, v141
	v_add_f16_e64 v136, v127, v136
	;; [unrolled: 1-line block ×4, first 2 shown]
	v_bfi_b32 v147, 0xffff, v144, v53
	v_fma_f16 v145, v50, 0xb93d, -v145
	v_mul_f16_e64 v130, 0xba0c, v130
	v_add_f16_e64 v140, v44, v140
	v_add_f16_e64 v135, v44, v135
	v_pk_add_f16 v131, v147, v137
	v_add_f16_e64 v137, v148, v138
	v_fma_f16 v138, 0x3a0c, v129, v149
	v_mul_f16_e64 v147, 0x3482, v143
	v_mul_f16_e64 v148, 0xbbad, v146
	v_add_f16_e64 v133, v145, v133
	v_pk_add_f16 v42, v42, v125
	v_add_f16_e64 v138, v138, v139
	v_fma_f16 v139, 0xbbad, v50, v147
	v_fma_f16 v150, 0xb482, v129, v148
	v_fma_f16 v145, v50, 0xbbad, -v147
	v_fma_f16 v125, 0xb93d, v45, v130
	v_fmac_f16_e64 v149, 0xba0c, v129
	v_add_f16_e64 v139, v139, v140
	v_add_f16_e64 v140, v150, v141
	v_mul_f16_e64 v141, 0x3beb, v143
	v_add_f16_e64 v135, v145, v135
	v_pk_add_f16 v145, v51, v52 neg_lo:[0,1] neg_hi:[0,1]
	v_pk_add_f16 v51, v52, v51
	v_add_f16_e32 v125, v44, v125
	v_fma_f16 v130, v45, 0xb93d, -v130
	v_add_f16_e64 v134, v149, v134
	v_mul_f16_e64 v143, 0xb08e, v146
	v_fmac_f16_e64 v148, 0x3482, v129
	v_fma_f16 v146, 0xb08e, v50, v141
	v_pk_mul_f16 v52, 0xbbeb, v145 op_sel_hi:[0,1]
	v_lshrrev_b32_e32 v149, 16, v51
	v_add_f16_e64 v130, v44, v130
	v_fma_f16 v147, 0xbbeb, v129, v143
	v_add_f16_e64 v136, v148, v136
	v_lshrrev_b32_e32 v148, 16, v145
	v_add_f16_e64 v125, v146, v125
	v_pk_fma_f16 v146, 0xb08e, v51, v52 op_sel:[0,0,1] op_sel_hi:[0,1,0]
	v_pk_fma_f16 v52, 0xb08e, v51, v52 op_sel:[0,0,1] op_sel_hi:[0,1,0] neg_lo:[0,0,1] neg_hi:[0,0,1]
	v_fma_f16 v141, v50, 0xb08e, -v141
	v_fmac_f16_e64 v143, 0x3beb, v129
	v_mul_f16_e64 v152, 0xbbad, v149
	v_add_f16_e64 v142, v147, v142
	v_mul_f16_e64 v147, 0x3482, v148
	v_bfi_b32 v150, 0xffff, v146, v52
	v_add_f16_e64 v130, v141, v130
	v_add_f16_e64 v127, v143, v127
	v_fma_f16 v141, 0xb482, v145, v152
	v_mul_f16_e64 v143, 0x3b47, v148
	v_fma_f16 v151, 0xbbad, v51, v147
	v_pk_add_f16 v131, v150, v131
	v_mul_f16_e64 v150, 0x36a6, v149
	v_add_f16_e64 v138, v141, v138
	v_fma_f16 v141, 0x36a6, v51, v143
	v_fma_f16 v143, v51, 0x36a6, -v143
	v_add_f16_e64 v137, v151, v137
	v_fma_f16 v147, v51, 0xbbad, -v147
	v_fma_f16 v151, 0xbb47, v145, v150
	v_add_f16_e64 v139, v141, v139
	v_mul_f16_e64 v141, 0xb853, v148
	v_add_f16_e64 v135, v143, v135
	v_pk_add_f16 v143, v46, v49 neg_lo:[0,1] neg_hi:[0,1]
	v_pk_add_f16 v46, v49, v46
	v_add_f16_e64 v133, v147, v133
	v_add_f16_e64 v140, v151, v140
	v_mul_f16_e64 v147, 0x3abb, v149
	v_fmac_f16_e64 v150, 0x3b47, v145
	v_fma_f16 v148, 0x3abb, v51, v141
	v_pk_mul_f16 v49, 0xba0c, v143 op_sel_hi:[0,1]
	v_lshrrev_b32_e32 v151, 16, v46
	v_fmac_f16_e64 v152, 0x3482, v145
	v_fma_f16 v149, 0x3853, v145, v147
	v_add_f16_e64 v136, v150, v136
	v_lshrrev_b32_e32 v150, 16, v143
	v_add_f16_e64 v125, v148, v125
	v_pk_fma_f16 v148, 0xb93d, v46, v49 op_sel:[0,0,1] op_sel_hi:[0,1,0]
	v_pk_fma_f16 v49, 0xb93d, v46, v49 op_sel:[0,0,1] op_sel_hi:[0,1,0] neg_lo:[0,0,1] neg_hi:[0,0,1]
	v_fma_f16 v141, v51, 0x3abb, -v141
	v_fmac_f16_e64 v147, 0xb853, v145
	v_mul_f16_e64 v154, 0xb08e, v151
	v_add_f16_e64 v134, v152, v134
	v_add_f16_e64 v142, v149, v142
	v_mul_f16_e64 v149, 0x3beb, v150
	v_bfi_b32 v152, 0xffff, v148, v49
	v_add_f16_e64 v130, v141, v130
	v_add_f16_e64 v127, v147, v127
	v_fma_f16 v141, 0xbbeb, v143, v154
	v_mul_f16_e64 v147, 0xb853, v150
	v_fma_f16 v153, 0xb08e, v46, v149
	v_pk_add_f16 v131, v152, v131
	v_mul_f16_e64 v152, 0x3abb, v151
	v_fma_f16 v149, v46, 0xb08e, -v149
	v_add_f16_e64 v138, v141, v138
	v_fma_f16 v141, 0x3abb, v46, v147
	v_fma_f16 v147, v46, 0x3abb, -v147
	v_add_f16_e64 v137, v153, v137
	v_fma_f16 v153, 0x3853, v143, v152
	v_add_f16_e64 v133, v149, v133
	v_add_f16_e64 v139, v141, v139
	v_mul_f16_e64 v141, 0xb482, v150
	v_mul_f16_e64 v149, 0xbbad, v151
	v_add_f16_e64 v135, v147, v135
	v_pk_add_f16 v147, v47, v48 neg_lo:[0,1] neg_hi:[0,1]
	v_fmac_f16_e64 v152, 0xb853, v143
	v_fma_f16 v150, 0xbbad, v46, v141
	v_fma_f16 v151, 0x3482, v143, v149
	v_pk_add_f16 v47, v48, v47
	v_pk_mul_f16 v48, 0xb482, v147 op_sel_hi:[0,1]
	v_add_f16_e64 v136, v152, v136
	v_lshrrev_b32_e32 v152, 16, v147
	v_fmac_f16_e64 v154, 0x3beb, v143
	v_add_f16_e64 v140, v153, v140
	v_add_f16_e64 v125, v150, v125
	;; [unrolled: 1-line block ×3, first 2 shown]
	v_pk_fma_f16 v150, 0xbbad, v47, v48 op_sel:[0,0,1] op_sel_hi:[0,1,0]
	v_pk_fma_f16 v48, 0xbbad, v47, v48 op_sel:[0,0,1] op_sel_hi:[0,1,0] neg_lo:[0,0,1] neg_hi:[0,0,1]
	v_mul_f16_e64 v151, 0x3853, v152
	v_fma_f16 v141, v46, 0xbbad, -v141
	v_lshrrev_b32_e32 v153, 16, v47
	v_add_f16_e64 v134, v154, v134
	v_fmac_f16_e64 v149, 0xb482, v143
	v_bfi_b32 v154, 0xffff, v150, v48
	v_fma_f16 v155, 0x3abb, v47, v151
	v_add_f16_e64 v130, v141, v130
	v_mul_f16_e64 v141, 0x3abb, v153
	v_add_f16_e64 v127, v149, v127
	v_pk_add_f16 v131, v154, v131
	v_add_f16_e64 v137, v155, v137
	v_mul_f16_e64 v149, 0xba0c, v152
	v_fma_f16 v154, 0xb853, v147, v141
	v_fma_f16 v151, v47, 0x3abb, -v151
	v_fmac_f16_e64 v141, 0x3853, v147
	v_mul_f16_e64 v155, 0xb93d, v153
	v_fma_f16 v156, 0xb93d, v47, v149
	v_fma_f16 v149, v47, 0xb93d, -v149
	v_add_f16_e64 v133, v151, v133
	v_add_f16_e64 v134, v141, v134
	v_fma_f16 v141, 0x3a0c, v147, v155
	v_mul_f16_e64 v151, 0x3b47, v152
	v_add_f16_e64 v135, v149, v135
	v_pk_mul_f16 v45, 0xbbad, v45 op_sel_hi:[0,1]
	v_pk_mul_f16 v50, 0x3abb, v50 op_sel_hi:[0,1]
	v_add_f16_e64 v140, v141, v140
	v_mul_f16_e64 v141, 0x36a6, v153
	v_fma_f16 v149, 0x36a6, v47, v151
	v_add_f16_e64 v138, v154, v138
	v_add_f16_e64 v139, v156, v139
	v_pk_mul_f16 v51, 0xb93d, v51 op_sel_hi:[0,1]
	v_fma_f16 v152, 0xbb47, v147, v141
	v_fmac_f16_e64 v141, 0x3b47, v147
	v_add_f16_e64 v125, v149, v125
	v_pk_fma_f16 v149, 0xb482, v126, v45 op_sel:[0,0,1] op_sel_hi:[0,1,0]
	v_pk_fma_f16 v45, 0xb482, v126, v45 op_sel:[0,0,1] op_sel_hi:[0,1,0] neg_lo:[0,1,0] neg_hi:[0,1,0]
	v_pk_fma_f16 v126, 0x3853, v129, v50 op_sel:[0,0,1] op_sel_hi:[0,1,0]
	v_add_f16_e64 v127, v141, v127
	v_pack_b32_f16 v139, v139, v140
	v_alignbit_b32 v141, s0, v149, 16
	v_pack_b32_f16 v137, v137, v138
	v_alignbit_b32 v140, s0, v44, 16
	v_pk_add_f16 v45, v44, v45 op_sel:[1,0] op_sel_hi:[0,1]
	v_pk_fma_f16 v50, 0x3853, v129, v50 op_sel:[0,0,1] op_sel_hi:[0,1,0] neg_lo:[0,1,0] neg_hi:[0,1,0]
	v_pk_add_f16 v138, v44, v141
	v_alignbit_b32 v141, s0, v126, 16
	v_pk_fma_f16 v129, 0xba0c, v145, v51 op_sel:[0,0,1] op_sel_hi:[0,1,0]
	v_pk_mul_f16 v46, 0x36a6, v46 op_sel_hi:[0,1]
	v_pk_add_f16 v140, v140, v149
	v_pk_add_f16 v45, v50, v45
	;; [unrolled: 1-line block ×3, first 2 shown]
	v_alignbit_b32 v50, s0, v129, 16
	v_pk_fma_f16 v51, 0xba0c, v145, v51 op_sel:[0,0,1] op_sel_hi:[0,1,0] neg_lo:[0,1,0] neg_hi:[0,1,0]
	v_pk_fma_f16 v141, 0x3b47, v143, v46 op_sel:[0,0,1] op_sel_hi:[0,1,0]
	v_bfi_b32 v128, 0xffff, v128, v132
	v_fma_f16 v151, v47, 0x36a6, -v151
	v_pk_add_f16 v126, v126, v140
	v_pk_add_f16 v50, v50, v138
	;; [unrolled: 1-line block ×3, first 2 shown]
	v_alignbit_b32 v51, s0, v141, 16
	v_pk_mul_f16 v47, 0xb08e, v47 op_sel_hi:[0,1]
	v_pk_add_f16 v44, v44, v128
	v_bfi_b32 v53, 0xffff, v53, v144
	v_pk_add_f16 v126, v129, v126
	v_pk_fma_f16 v46, 0x3b47, v143, v46 op_sel:[0,0,1] op_sel_hi:[0,1,0] neg_lo:[0,1,0] neg_hi:[0,1,0]
	v_pk_add_f16 v50, v51, v50
	v_pk_fma_f16 v51, 0xbbeb, v147, v47 op_sel:[0,0,1] op_sel_hi:[0,1,0]
	v_pk_add_f16 v44, v53, v44
	v_bfi_b32 v52, 0xffff, v52, v146
	v_pk_add_f16 v45, v46, v45
	v_pk_fma_f16 v46, 0xbbeb, v147, v47 op_sel:[0,0,1] op_sel_hi:[0,1,0] neg_lo:[0,1,0] neg_hi:[0,1,0]
	v_pk_add_f16 v47, v141, v126
	v_alignbit_b32 v53, s0, v51, 16
	v_fmac_f16_e64 v155, 0xba0c, v147
	v_pk_add_f16 v44, v52, v44
	v_bfi_b32 v49, 0xffff, v49, v148
	v_add_f16_e64 v142, v152, v142
	v_pk_add_f16 v45, v46, v45
	v_pk_add_f16 v46, v51, v47
	;; [unrolled: 1-line block ×3, first 2 shown]
	v_add_f16_e64 v136, v155, v136
	v_add_f16_e64 v130, v151, v130
	v_pk_add_f16 v44, v49, v44
	v_bfi_b32 v48, 0xffff, v48, v150
	v_pack_b32_f16 v50, v125, v142
	v_alignbit_b32 v46, v46, v45, 16
	v_pack_b32_f16 v45, v47, v45
	v_pack_b32_f16 v47, v135, v136
	;; [unrolled: 1-line block ×3, first 2 shown]
	global_wb scope:SCOPE_SE
	s_barrier_signal -1
	s_barrier_wait -1
	global_inv scope:SCOPE_SE
	v_pk_add_f16 v44, v48, v44
	v_pack_b32_f16 v48, v133, v134
	ds_store_2addr_b32 v90, v42, v131 offset1:1
	ds_store_2addr_b32 v90, v137, v139 offset0:2 offset1:3
	ds_store_b32 v90, v50 offset:16
	ds_store_2addr_b32 v90, v45, v46 offset0:5 offset1:6
	ds_store_2addr_b32 v90, v49, v47 offset0:7 offset1:8
	;; [unrolled: 1-line block ×3, first 2 shown]
	s_and_saveexec_b32 s0, vcc_lo
	s_cbranch_execz .LBB0_13
; %bb.12:
	v_lshrrev_b32_e32 v42, 16, v28
	v_sub_f16_e32 v44, v43, v78
	v_add_f16_e32 v45, v79, v124
	v_sub_f16_e32 v46, v39, v24
	v_add_f16_e32 v47, v80, v122
	v_add_f16_e32 v48, v42, v123
	v_sub_f16_e64 v129, v123, v42
	v_mul_f16_e32 v127, 0x3abb, v45
	v_sub_f16_e32 v49, v41, v23
	v_add_f16_e32 v125, v78, v43
	v_mul_f16_e32 v53, 0xbbad, v48
	v_sub_f16_e64 v130, v124, v79
	v_mul_f16_e64 v131, 0xb93d, v47
	v_fma_f16 v132, 0xb853, v46, v127
	v_mul_f16_e64 v133, 0xb482, v129
	v_fma_f16 v128, 0x3482, v44, v53
	v_add_f16_e32 v126, v24, v39
	v_sub_f16_e64 v134, v122, v80
	v_fma_f16 v136, 0x3a0c, v49, v131
	v_mul_f16_e64 v137, 0x3853, v130
	v_add_f16_e64 v128, v121, v128
	v_add_f16_e64 v140, v23, v41
	v_mul_f16_e64 v141, 0xba0c, v134
	v_mul_f16_e64 v142, 0xb93d, v48
	;; [unrolled: 1-line block ×3, first 2 shown]
	v_add_f16_e64 v128, v132, v128
	v_fma_f16 v132, 0xbbad, v125, v133
	v_add_f16_e32 v50, v81, v82
	v_mul_f16_e64 v148, 0x3abb, v47
	v_fma_f16 v147, 0xbbeb, v46, v143
	v_add_f16_e64 v128, v136, v128
	v_add_f16_e64 v132, v40, v132
	v_fma_f16 v136, 0x3abb, v126, v137
	v_sub_f16_e32 v51, v27, v26
	v_add_f16_e32 v52, v84, v83
	v_mul_f16_e64 v152, 0xbbad, v50
	v_sub_f16_e32 v90, v28, v25
	v_add_f16_e64 v132, v136, v132
	v_fma_f16 v136, 0xb93d, v140, v141
	v_mul_f16_e64 v154, 0x36a6, v52
	v_mul_f16_e64 v156, 0xb08e, v48
	;; [unrolled: 1-line block ×4, first 2 shown]
	v_add_f16_e64 v132, v136, v132
	v_fma_f16 v136, 0x3a0c, v44, v142
	v_mul_f16_e64 v164, 0x3abb, v50
	v_fma_f16 v161, 0xb482, v46, v159
	v_mul_f16_e64 v166, 0xb93d, v52
	v_mul_f16_e64 v168, 0x36a6, v48
	v_add_f16_e64 v136, v121, v136
	v_mul_f16_e64 v171, 0xb93d, v45
	v_mul_f16_e64 v174, 0xbbad, v47
	;; [unrolled: 1-line block ×4, first 2 shown]
	v_add_f16_e64 v136, v147, v136
	v_fma_f16 v147, 0x3853, v49, v148
	v_fma_f16 v173, 0x3a0c, v46, v171
	v_mul_f16_e32 v48, 0x3abb, v48
	v_mul_f16_e64 v135, 0x36a6, v50
	v_mul_f16_e32 v45, 0x36a6, v45
	v_add_f16_e64 v136, v147, v136
	v_fma_f16 v147, 0x3482, v51, v152
	v_mul_f16_e64 v138, 0xb08e, v52
	v_fma_f16 v139, 0xbb47, v51, v135
	v_fma_f16 v183, 0x3b47, v46, v45
	v_mul_f16_e32 v47, 0xb08e, v47
	v_add_f16_e64 v136, v147, v136
	v_fma_f16 v147, 0xbb47, v90, v154
	v_add_f16_e64 v128, v139, v128
	v_fma_f16 v139, 0x3beb, v90, v138
	v_mul_f16_e32 v50, 0xb93d, v50
	v_add_f16_e32 v43, v43, v40
	v_add_f16_e64 v136, v147, v136
	v_fma_f16 v147, 0x3beb, v44, v156
	v_add_f16_e64 v128, v139, v128
	v_sub_f16_e64 v139, v82, v81
	v_mul_f16_e64 v153, 0xba0c, v129
	v_mul_f16_e64 v165, 0xbbeb, v129
	v_add_f16_e64 v147, v121, v147
	v_mul_f16_e64 v177, 0xbb47, v129
	v_mul_f16_e64 v129, 0xb853, v129
	v_add_f16_e32 v39, v39, v43
	v_add_f16_e32 v43, v123, v121
	v_add_f16_e64 v147, v161, v147
	v_fma_f16 v161, 0xbb47, v49, v162
	v_add_f16_e64 v144, v26, v27
	v_mul_f16_e64 v145, 0x3b47, v139
	v_sub_f16_e64 v146, v83, v84
	v_mul_f16_e64 v155, 0x3beb, v130
	v_add_f16_e64 v147, v161, v147
	v_fma_f16 v161, 0x3853, v51, v164
	v_mul_f16_e64 v167, 0x3482, v130
	v_mul_f16_e64 v179, 0xba0c, v130
	;; [unrolled: 1-line block ×3, first 2 shown]
	v_add_f16_e32 v39, v41, v39
	v_add_f16_e64 v147, v161, v147
	v_fma_f16 v161, 0x3a0c, v90, v166
	v_add_f16_e32 v41, v124, v43
	v_fma_f16 v149, 0x36a6, v144, v145
	v_add_f16_e64 v150, v25, v28
	v_mul_f16_e64 v151, 0xbbeb, v146
	v_add_f16_e64 v147, v161, v147
	v_fma_f16 v161, 0x3b47, v44, v168
	v_mul_f16_e32 v43, 0xbbad, v52
	v_fma_f16 v124, 0x36a6, v126, v130
	v_add_f16_e32 v27, v27, v39
	v_add_f16_e32 v39, v122, v41
	v_add_f16_e64 v161, v121, v161
	v_mul_f16_e64 v41, 0xbbeb, v134
	v_add_f16_e64 v132, v149, v132
	v_fma_f16 v149, 0xb08e, v150, v151
	v_add_f16_e32 v27, v28, v27
	v_add_f16_e64 v161, v173, v161
	v_fma_f16 v173, 0xb482, v49, v174
	v_add_f16_e32 v28, v82, v39
	v_fma_f16 v39, 0xb08e, v140, v41
	v_mul_f16_e64 v82, 0xba0c, v139
	v_add_f16_e64 v132, v149, v132
	v_add_f16_e64 v161, v173, v161
	v_fma_f16 v173, 0xbbeb, v51, v176
	v_fma_f16 v149, 0xb93d, v125, v153
	v_add_f16_e32 v25, v25, v27
	v_add_f16_e32 v27, v83, v28
	v_fma_f16 v157, 0xb08e, v126, v155
	v_add_f16_e64 v161, v173, v161
	v_fma_f16 v173, 0xb853, v90, v178
	v_add_f16_e64 v149, v40, v149
	v_mul_f16_e64 v158, 0xb853, v134
	v_add_f16_e32 v25, v26, v25
	v_add_f16_e32 v26, v84, v27
	v_add_f16_e64 v161, v173, v161
	v_fma_f16 v173, 0x3853, v44, v48
	v_fmac_f16_e32 v53, 0xb482, v44
	v_add_f16_e64 v149, v157, v149
	v_fma_f16 v157, 0x3abb, v140, v158
	v_mul_f16_e64 v160, 0xb482, v139
	v_add_f16_e64 v173, v121, v173
	v_add_f16_e32 v23, v23, v25
	v_add_f16_e32 v25, v81, v26
	;; [unrolled: 1-line block ×3, first 2 shown]
	v_fmac_f16_e32 v127, 0x3853, v46
	v_add_f16_e64 v173, v183, v173
	v_fma_f16 v183, 0x3beb, v49, v47
	v_add_f16_e64 v149, v157, v149
	v_fma_f16 v157, 0xbbad, v144, v160
	v_mul_f16_e64 v163, 0x3b47, v146
	v_add_f16_e32 v23, v24, v23
	v_add_f16_e64 v173, v183, v173
	v_fma_f16 v183, 0x3a0c, v51, v50
	v_add_f16_e32 v24, v80, v25
	v_add_f16_e32 v25, v127, v26
	v_add_f16_e64 v149, v157, v149
	v_fma_f16 v157, 0x36a6, v150, v163
	v_add_f16_e64 v123, v183, v173
	v_fma_f16 v173, 0x3abb, v125, v129
	v_add_f16_e32 v24, v79, v24
	v_fmac_f16_e64 v142, 0xba0c, v44
	v_add_f16_e64 v149, v157, v149
	v_fma_f16 v157, 0xb08e, v125, v165
	v_add_f16_e64 v52, v40, v173
	v_add_f16_e32 v24, v42, v24
	v_fmac_f16_e64 v143, 0x3beb, v46
	v_fma_f16 v42, v125, 0xb93d, -v153
	v_add_f16_e64 v157, v40, v157
	v_add_f16_e32 v52, v124, v52
	v_fma_f16 v169, 0xbbad, v126, v167
	v_mul_f16_e64 v170, 0x3b47, v134
	v_fmac_f16_e64 v148, 0xb853, v49
	v_add_f16_e32 v42, v40, v42
	v_add_f16_e32 v28, v39, v52
	v_fma_f16 v39, 0xb93d, v144, v82
	v_mul_f16_e64 v52, 0xb482, v146
	v_fma_f16 v53, v126, 0xb08e, -v155
	v_add_f16_e64 v157, v169, v157
	v_fma_f16 v169, 0x36a6, v140, v170
	v_add_f16_e32 v27, v39, v28
	v_fma_f16 v28, 0xbbad, v150, v52
	v_add_f16_e64 v39, v121, v142
	v_mul_f16_e64 v172, 0xb853, v139
	v_add_f16_e64 v157, v169, v157
	v_mul_f16_e64 v175, 0xba0c, v146
	v_add_f16_e32 v27, v28, v27
	v_fma_f16 v28, v125, 0xbbad, -v133
	v_add_f16_e64 v39, v143, v39
	v_fma_f16 v169, 0x3abb, v144, v172
	v_fmac_f16_e64 v156, 0xbbeb, v44
	v_fmac_f16_e64 v159, 0x3482, v46
	v_add_f16_e32 v26, v40, v28
	v_fma_f16 v28, v126, 0x3abb, -v137
	v_add_f16_e64 v157, v169, v157
	v_fma_f16 v169, 0xb93d, v150, v175
	v_fma_f16 v80, v150, 0x36a6, -v163
	v_add_f16_e32 v23, v78, v23
	v_add_f16_e32 v26, v28, v26
	v_fma_f16 v28, v140, 0xb93d, -v141
	v_add_f16_e64 v157, v169, v157
	v_fma_f16 v169, 0x36a6, v125, v177
	v_fmac_f16_e64 v162, 0x3b47, v49
	v_fma_f16 v78, v125, 0xb08e, -v165
	v_add_f16_e32 v26, v28, v26
	v_fma_f16 v28, v144, 0x36a6, -v145
	v_fmac_f16_e64 v168, 0xbb47, v44
	v_fmac_f16_e32 v48, 0xb853, v44
	v_fma_f16 v44, v125, 0x3abb, -v129
	v_add_f16_e64 v169, v40, v169
	v_add_f16_e32 v26, v28, v26
	v_fma_f16 v28, v150, 0xb08e, -v151
	v_fma_f16 v180, 0xb93d, v126, v179
	v_mul_f16_e64 v181, 0x3482, v134
	v_add_f16_e64 v79, v121, v168
	v_fmac_f16_e64 v171, 0xba0c, v46
	v_add_f16_e32 v26, v28, v26
	v_add_f16_e64 v28, v148, v39
	v_add_f16_e32 v39, v53, v42
	v_fma_f16 v42, v140, 0x3abb, -v158
	v_add_f16_e64 v53, v121, v156
	v_fma_f16 v81, v126, 0xb93d, -v179
	v_add_f16_e32 v48, v121, v48
	v_fmac_f16_e32 v45, 0xbb47, v46
	v_add_f16_e32 v39, v42, v39
	v_fma_f16 v42, v144, 0xbbad, -v160
	v_add_f16_e64 v53, v159, v53
	v_add_f16_e64 v169, v180, v169
	v_fma_f16 v180, 0xbbad, v140, v181
	v_mul_f16_e64 v182, 0x3beb, v139
	v_add_f16_e32 v39, v42, v39
	v_add_f16_e64 v42, v162, v53
	v_add_f16_e32 v53, v40, v78
	v_fma_f16 v78, v126, 0xbbad, -v167
	v_fmac_f16_e64 v131, 0xba0c, v49
	v_add_f16_e32 v39, v80, v39
	v_fma_f16 v80, v125, 0x36a6, -v177
	v_add_f16_e64 v79, v171, v79
	v_add_f16_e32 v53, v78, v53
	v_fma_f16 v78, v140, 0x36a6, -v170
	v_fmac_f16_e64 v174, 0x3482, v49
	v_add_f16_e32 v80, v40, v80
	v_add_f16_e32 v40, v40, v44
	v_fma_f16 v44, v126, 0x36a6, -v130
	v_add_f16_e32 v45, v45, v48
	v_fmac_f16_e32 v47, 0xbbeb, v49
	v_add_f16_e32 v46, v81, v80
	v_fma_f16 v80, v140, 0xbbad, -v181
	v_add_f16_e32 v40, v44, v40
	v_fma_f16 v41, v140, 0xb08e, -v41
	v_add_f16_e64 v169, v180, v169
	v_fma_f16 v180, 0xb08e, v144, v182
	v_mul_f16_e64 v184, 0x3853, v146
	v_add_f16_e64 v25, v131, v25
	v_fmac_f16_e64 v135, 0x3b47, v51
	v_fmac_f16_e64 v152, 0xb482, v51
	;; [unrolled: 1-line block ×3, first 2 shown]
	v_add_f16_e32 v53, v78, v53
	v_fma_f16 v78, v144, 0x3abb, -v172
	v_add_f16_e64 v79, v174, v79
	v_fmac_f16_e64 v176, 0x3beb, v51
	v_add_f16_e32 v44, v80, v46
	v_fma_f16 v46, v144, 0xb08e, -v182
	v_fmamk_f16 v122, v90, 0x3482, v43
	v_add_f16_e32 v45, v47, v45
	v_fmac_f16_e32 v50, 0xba0c, v51
	v_add_f16_e32 v40, v41, v40
	v_fma_f16 v41, v144, 0xb93d, -v82
	v_add_f16_e64 v169, v180, v169
	v_fma_f16 v180, 0x3abb, v150, v184
	v_add_f16_e64 v25, v135, v25
	v_fmac_f16_e64 v138, 0xbbeb, v90
	v_add_f16_e64 v28, v152, v28
	v_fmac_f16_e64 v154, 0x3b47, v90
	;; [unrolled: 2-line block ×3, first 2 shown]
	v_add_f16_e32 v53, v78, v53
	v_fma_f16 v78, v150, 0xb93d, -v175
	v_add_f16_e64 v79, v176, v79
	v_fmac_f16_e64 v178, 0x3853, v90
	v_add_f16_e32 v44, v46, v44
	v_fma_f16 v46, v150, 0x3abb, -v184
	v_add_f16_e32 v122, v122, v123
	v_add_f16_e32 v45, v50, v45
	v_fmac_f16_e32 v43, 0xb482, v90
	v_add_f16_e32 v40, v41, v40
	v_fma_f16 v41, v150, 0xbbad, -v52
	v_add_f16_e64 v169, v180, v169
	v_add_f16_e64 v25, v138, v25
	;; [unrolled: 1-line block ×4, first 2 shown]
	v_add_f16_e32 v47, v78, v53
	v_add_f16_e64 v48, v178, v79
	v_add_f16_e32 v44, v46, v44
	v_add_f16_e32 v43, v43, v45
	;; [unrolled: 1-line block ×3, first 2 shown]
	v_lshlrev_b32_e32 v41, 2, v85
	v_pack_b32_f16 v27, v27, v122
	v_pack_b32_f16 v23, v23, v24
	;; [unrolled: 1-line block ×11, first 2 shown]
	ds_store_2addr_b32 v41, v23, v27 offset1:1
	ds_store_2addr_b32 v41, v45, v24 offset0:2 offset1:3
	ds_store_2addr_b32 v41, v49, v46 offset0:4 offset1:5
	;; [unrolled: 1-line block ×4, first 2 shown]
	ds_store_b32 v41, v40 offset:40
.LBB0_13:
	s_wait_alu 0xfffe
	s_or_b32 exec_lo, exec_lo, s0
	global_wb scope:SCOPE_SE
	s_wait_dscnt 0x0
	s_barrier_signal -1
	s_barrier_wait -1
	global_inv scope:SCOPE_SE
	ds_load_2addr_b32 v[39:40], v54 offset0:110 offset1:165
	v_add_nc_u32_e32 v24, 0x400, v54
	v_add_nc_u32_e32 v23, 0x800, v54
	;; [unrolled: 1-line block ×3, first 2 shown]
	ds_load_2addr_b32 v[26:27], v54 offset1:55
	ds_load_2addr_b32 v[41:42], v24 offset0:74 offset1:129
	ds_load_2addr_b32 v[43:44], v24 offset0:184 offset1:239
	;; [unrolled: 1-line block ×5, first 2 shown]
	ds_load_b32 v28, v54 offset:3080
	global_wb scope:SCOPE_SE
	s_wait_dscnt 0x0
	s_barrier_signal -1
	s_barrier_wait -1
	global_inv scope:SCOPE_SE
	s_mov_b32 s8, 0x3dc013dc
	s_mov_b32 s9, 0x3f53dc01
	v_lshrrev_b32_e32 v52, 16, v40
	v_lshrrev_b32_e32 v79, 16, v41
	;; [unrolled: 1-line block ×5, first 2 shown]
	v_mul_f16_e32 v124, v112, v52
	v_lshrrev_b32_e32 v83, 16, v42
	v_mul_f16_e32 v112, v112, v40
	v_mul_f16_e32 v125, v111, v79
	;; [unrolled: 1-line block ×4, first 2 shown]
	v_fmac_f16_e32 v124, v8, v40
	v_mul_f16_e32 v40, v110, v44
	v_lshrrev_b32_e32 v84, 16, v49
	v_lshrrev_b32_e32 v85, 16, v46
	v_fma_f16 v8, v8, v52, -v112
	v_fmac_f16_e32 v125, v9, v41
	v_fma_f16 v9, v9, v79, -v111
	v_fmac_f16_e32 v126, v10, v44
	v_mul_f16_e32 v41, v109, v81
	v_mul_f16_e32 v44, v109, v45
	;; [unrolled: 1-line block ×4, first 2 shown]
	v_fma_f16 v10, v10, v80, -v40
	v_mul_f16_e32 v40, v106, v83
	v_lshrrev_b32_e32 v90, 16, v48
	v_lshrrev_b32_e32 v121, 16, v43
	v_fmac_f16_e32 v41, v11, v45
	v_fma_f16 v11, v11, v81, -v44
	v_fmac_f16_e32 v52, v4, v47
	v_fma_f16 v4, v4, v82, -v79
	v_mul_f16_e32 v44, v106, v42
	v_mul_f16_e32 v45, v104, v84
	;; [unrolled: 1-line block ×4, first 2 shown]
	v_fmac_f16_e32 v40, v5, v42
	v_mul_f16_e32 v42, v102, v46
	v_lshrrev_b32_e32 v122, 16, v50
	v_fma_f16 v5, v5, v83, -v44
	v_fmac_f16_e32 v45, v6, v49
	v_fma_f16 v6, v6, v84, -v47
	v_fmac_f16_e32 v79, v7, v46
	v_mul_f16_e32 v44, v107, v90
	v_mul_f16_e32 v46, v107, v48
	v_mul_f16_e32 v47, v105, v121
	v_mul_f16_e32 v49, v105, v43
	v_fma_f16 v7, v7, v85, -v42
	v_add_f16_e32 v42, v125, v126
	v_lshrrev_b32_e32 v123, 16, v28
	v_fmac_f16_e32 v44, v0, v48
	v_fma_f16 v0, v0, v90, -v46
	v_fmac_f16_e32 v47, v1, v43
	v_fma_f16 v1, v1, v121, -v49
	v_mul_f16_e32 v43, v99, v122
	v_mul_f16_e32 v46, v99, v50
	v_add_f16_e32 v49, v26, v124
	v_fma_f16 v42, -0.5, v42, v26
	v_sub_f16_e32 v80, v8, v11
	v_lshrrev_b32_e32 v51, 16, v26
	v_mul_f16_e32 v48, v94, v123
	v_fmac_f16_e32 v43, v2, v50
	v_fma_f16 v2, v2, v122, -v46
	v_add_f16_e32 v46, v49, v125
	v_fmamk_f16 v49, v80, 0xbb9c, v42
	v_sub_f16_e32 v50, v9, v10
	v_sub_f16_e32 v81, v124, v125
	;; [unrolled: 1-line block ×3, first 2 shown]
	v_add_f16_e32 v83, v124, v41
	v_fmac_f16_e32 v42, 0x3b9c, v80
	v_fmac_f16_e32 v48, v3, v28
	v_mul_f16_e32 v28, v94, v28
	v_add_f16_e32 v46, v46, v126
	v_fmac_f16_e32 v49, 0xb8b4, v50
	v_add_f16_e32 v81, v81, v82
	v_fma_f16 v26, -0.5, v83, v26
	v_sub_f16_e32 v82, v125, v124
	v_sub_f16_e32 v83, v126, v41
	v_fmac_f16_e32 v42, 0x38b4, v50
	v_add_f16_e32 v84, v51, v8
	v_add_f16_e32 v85, v9, v10
	v_fma_f16 v3, v3, v123, -v28
	v_add_f16_e32 v28, v46, v41
	v_fmac_f16_e32 v49, 0x34f2, v81
	v_fmamk_f16 v46, v50, 0x3b9c, v26
	v_add_f16_e32 v82, v82, v83
	v_fmac_f16_e32 v26, 0xbb9c, v50
	v_add_f16_e32 v50, v84, v9
	v_fma_f16 v83, -0.5, v85, v51
	v_sub_f16_e32 v41, v124, v41
	v_fmac_f16_e32 v42, 0x34f2, v81
	v_add_f16_e32 v81, v8, v11
	v_sub_f16_e32 v85, v8, v9
	v_sub_f16_e32 v8, v9, v8
	;; [unrolled: 1-line block ×3, first 2 shown]
	v_fmac_f16_e32 v46, 0xb8b4, v80
	v_fmac_f16_e32 v26, 0x38b4, v80
	v_add_f16_e32 v50, v50, v10
	v_fmamk_f16 v80, v41, 0x3b9c, v83
	v_sub_f16_e32 v84, v125, v126
	v_sub_f16_e32 v90, v11, v10
	v_fmac_f16_e32 v51, -0.5, v81
	v_fmac_f16_e32 v83, 0xbb9c, v41
	v_add_f16_e32 v10, v40, v45
	v_add_f16_e32 v8, v8, v9
	;; [unrolled: 1-line block ×3, first 2 shown]
	v_lshrrev_b32_e32 v53, 16, v27
	v_fmac_f16_e32 v46, 0x34f2, v82
	v_fmac_f16_e32 v26, 0x34f2, v82
	v_add_f16_e32 v50, v50, v11
	v_fmac_f16_e32 v80, 0x38b4, v84
	v_add_f16_e32 v81, v85, v90
	v_fmamk_f16 v82, v84, 0xbb9c, v51
	v_fmac_f16_e32 v83, 0xb8b4, v84
	v_fma_f16 v10, -0.5, v10, v27
	v_sub_f16_e32 v11, v4, v7
	v_fmac_f16_e32 v51, 0x3b9c, v84
	v_add_f16_e32 v9, v9, v40
	v_sub_f16_e32 v85, v52, v40
	v_sub_f16_e32 v90, v79, v45
	v_add_f16_e32 v94, v52, v79
	v_fmac_f16_e32 v80, 0x34f2, v81
	v_fmac_f16_e32 v82, 0x38b4, v41
	;; [unrolled: 1-line block ×3, first 2 shown]
	v_fmamk_f16 v81, v11, 0xbb9c, v10
	v_sub_f16_e32 v84, v5, v6
	v_fmac_f16_e32 v51, 0xb8b4, v41
	v_add_f16_e32 v9, v9, v45
	v_add_f16_e32 v41, v85, v90
	v_fmac_f16_e32 v27, -0.5, v94
	v_fmac_f16_e32 v10, 0x3b9c, v11
	v_sub_f16_e32 v85, v40, v52
	v_sub_f16_e32 v90, v45, v79
	v_add_f16_e32 v94, v53, v4
	v_add_f16_e32 v99, v5, v6
	v_fmac_f16_e32 v82, 0x34f2, v8
	v_fmac_f16_e32 v81, 0xb8b4, v84
	;; [unrolled: 1-line block ×3, first 2 shown]
	v_add_f16_e32 v8, v9, v79
	v_fmamk_f16 v9, v84, 0x3b9c, v27
	v_fmac_f16_e32 v10, 0x38b4, v84
	v_add_f16_e32 v85, v85, v90
	v_fmac_f16_e32 v27, 0xbb9c, v84
	v_add_f16_e32 v84, v94, v5
	v_fma_f16 v90, -0.5, v99, v53
	v_sub_f16_e32 v52, v52, v79
	v_add_f16_e32 v79, v4, v7
	v_fmac_f16_e32 v81, 0x34f2, v41
	v_fmac_f16_e32 v9, 0xb8b4, v11
	;; [unrolled: 1-line block ×4, first 2 shown]
	v_add_f16_e32 v11, v84, v6
	v_fmamk_f16 v41, v52, 0x3b9c, v90
	v_sub_f16_e32 v40, v40, v45
	v_sub_f16_e32 v45, v4, v5
	;; [unrolled: 1-line block ×3, first 2 shown]
	v_fmac_f16_e32 v53, -0.5, v79
	v_fmac_f16_e32 v90, 0xbb9c, v52
	v_sub_f16_e32 v4, v5, v4
	v_sub_f16_e32 v5, v6, v7
	v_add_f16_e32 v6, v47, v43
	v_add_f16_e32 v11, v11, v7
	v_fmac_f16_e32 v41, 0x38b4, v40
	v_add_f16_e32 v45, v45, v84
	v_fmamk_f16 v79, v40, 0xbb9c, v53
	v_fmac_f16_e32 v90, 0xb8b4, v40
	v_add_f16_e32 v4, v4, v5
	v_fmac_f16_e32 v53, 0x3b9c, v40
	v_add_f16_e32 v5, v39, v44
	v_fma_f16 v6, -0.5, v6, v39
	v_sub_f16_e32 v7, v0, v3
	v_fmac_f16_e32 v9, 0x34f2, v85
	v_fmac_f16_e32 v27, 0x34f2, v85
	;; [unrolled: 1-line block ×6, first 2 shown]
	v_add_f16_e32 v5, v5, v47
	v_fmamk_f16 v40, v7, 0xbb9c, v6
	v_sub_f16_e32 v45, v1, v2
	v_sub_f16_e32 v52, v44, v47
	;; [unrolled: 1-line block ×3, first 2 shown]
	v_fmac_f16_e32 v6, 0x3b9c, v7
	v_add_f16_e32 v85, v44, v48
	v_lshrrev_b32_e32 v78, 16, v39
	v_add_f16_e32 v5, v5, v43
	v_fmac_f16_e32 v40, 0xb8b4, v45
	v_add_f16_e32 v52, v52, v84
	v_fmac_f16_e32 v6, 0x38b4, v45
	v_fmac_f16_e32 v39, -0.5, v85
	v_sub_f16_e32 v84, v47, v44
	v_sub_f16_e32 v85, v43, v48
	v_fmac_f16_e32 v79, 0x34f2, v4
	v_fmac_f16_e32 v53, 0x34f2, v4
	v_add_f16_e32 v4, v5, v48
	v_fmac_f16_e32 v40, 0x34f2, v52
	v_fmac_f16_e32 v6, 0x34f2, v52
	v_fmamk_f16 v5, v45, 0x3b9c, v39
	v_add_f16_e32 v52, v1, v2
	v_fmac_f16_e32 v39, 0xbb9c, v45
	v_sub_f16_e32 v44, v44, v48
	v_add_f16_e32 v48, v84, v85
	v_add_f16_e32 v84, v0, v3
	;; [unrolled: 1-line block ×3, first 2 shown]
	v_fma_f16 v52, -0.5, v52, v78
	v_fmac_f16_e32 v5, 0xb8b4, v7
	v_fmac_f16_e32 v39, 0x38b4, v7
	v_sub_f16_e32 v43, v47, v43
	v_fmac_f16_e32 v78, -0.5, v84
	v_add_f16_e32 v7, v45, v1
	v_fmamk_f16 v45, v44, 0x3b9c, v52
	v_fmac_f16_e32 v5, 0x34f2, v48
	v_fmac_f16_e32 v39, 0x34f2, v48
	v_sub_f16_e32 v47, v0, v1
	v_sub_f16_e32 v48, v3, v2
	v_fmac_f16_e32 v52, 0xbb9c, v44
	v_fmamk_f16 v84, v43, 0xbb9c, v78
	v_sub_f16_e32 v0, v1, v0
	v_sub_f16_e32 v1, v2, v3
	v_fmac_f16_e32 v78, 0x3b9c, v43
	v_add_f16_e32 v7, v7, v2
	v_fmac_f16_e32 v45, 0x38b4, v43
	v_add_f16_e32 v2, v47, v48
	v_fmac_f16_e32 v52, 0xb8b4, v43
	v_fmac_f16_e32 v84, 0x38b4, v44
	v_add_f16_e32 v0, v0, v1
	v_fmac_f16_e32 v78, 0xb8b4, v44
	v_fmac_f16_e32 v45, 0x34f2, v2
	;; [unrolled: 1-line block ×3, first 2 shown]
	v_pack_b32_f16 v2, v49, v80
	v_fmac_f16_e32 v84, 0x34f2, v0
	v_fmac_f16_e32 v78, 0x34f2, v0
	v_pack_b32_f16 v0, v28, v50
	v_add_f16_e32 v1, v7, v3
	v_pack_b32_f16 v3, v46, v82
	v_pack_b32_f16 v7, v26, v51
	;; [unrolled: 1-line block ×5, first 2 shown]
	ds_store_2addr_b32 v88, v0, v2 offset1:11
	ds_store_2addr_b32 v88, v3, v7 offset0:22 offset1:33
	ds_store_b32 v88, v26 offset:176
	ds_store_2addr_b32 v87, v8, v11 offset1:11
	v_pack_b32_f16 v0, v9, v79
	v_pack_b32_f16 v2, v27, v53
	;; [unrolled: 1-line block ×8, first 2 shown]
	ds_store_2addr_b32 v87, v0, v2 offset0:22 offset1:33
	ds_store_b32 v87, v3 offset:176
	ds_store_2addr_b32 v86, v1, v4 offset1:11
	ds_store_2addr_b32 v86, v5, v7 offset0:22 offset1:33
	ds_store_b32 v86, v6 offset:176
	global_wb scope:SCOPE_SE
	s_wait_dscnt 0x0
	s_barrier_signal -1
	s_barrier_wait -1
	global_inv scope:SCOPE_SE
	ds_load_2addr_b32 v[0:1], v54 offset1:55
	ds_load_2addr_b32 v[2:3], v54 offset0:110 offset1:165
	ds_load_2addr_b32 v[4:5], v24 offset0:74 offset1:129
	;; [unrolled: 1-line block ×6, first 2 shown]
	ds_load_b32 v28, v54 offset:3080
	global_wb scope:SCOPE_SE
	s_wait_dscnt 0x0
	s_barrier_signal -1
	s_barrier_wait -1
	global_inv scope:SCOPE_SE
	v_lshrrev_b32_e32 v39, 16, v0
	v_lshrrev_b32_e32 v40, 16, v3
	;; [unrolled: 1-line block ×6, first 2 shown]
	v_mul_f16_e32 v78, v120, v40
	v_mul_f16_e32 v79, v120, v3
	;; [unrolled: 1-line block ×5, first 2 shown]
	v_lshrrev_b32_e32 v46, 16, v5
	v_lshrrev_b32_e32 v47, 16, v26
	v_fmac_f16_e32 v78, v16, v3
	v_fma_f16 v3, v16, v40, -v79
	v_fmac_f16_e32 v80, v17, v4
	v_fma_f16 v4, v17, v41, -v81
	v_fmac_f16_e32 v82, v18, v7
	v_mul_f16_e32 v7, v118, v7
	v_mul_f16_e32 v40, v117, v43
	;; [unrolled: 1-line block ×5, first 2 shown]
	v_lshrrev_b32_e32 v48, 16, v9
	v_lshrrev_b32_e32 v50, 16, v11
	v_fma_f16 v7, v18, v42, -v7
	v_fmac_f16_e32 v40, v19, v8
	v_fma_f16 v8, v19, v43, -v41
	v_fmac_f16_e32 v79, v16, v10
	v_fma_f16 v10, v16, v45, -v81
	v_mul_f16_e32 v16, v119, v46
	v_mul_f16_e32 v41, v119, v5
	;; [unrolled: 1-line block ×4, first 2 shown]
	v_lshrrev_b32_e32 v51, 16, v6
	v_mul_f16_e32 v45, v117, v48
	v_fmac_f16_e32 v16, v17, v5
	v_fma_f16 v5, v17, v46, -v41
	v_fmac_f16_e32 v42, v18, v26
	v_fma_f16 v17, v18, v47, -v43
	v_mul_f16_e32 v18, v116, v50
	v_mul_f16_e32 v26, v116, v11
	v_lshrrev_b32_e32 v52, 16, v27
	v_fmac_f16_e32 v45, v19, v9
	v_mul_f16_e32 v9, v117, v9
	v_mul_f16_e32 v41, v115, v51
	;; [unrolled: 1-line block ×3, first 2 shown]
	v_fmac_f16_e32 v18, v12, v11
	v_fma_f16 v11, v12, v50, -v26
	v_add_f16_e32 v12, v80, v82
	v_lshrrev_b32_e32 v53, 16, v28
	v_fma_f16 v9, v19, v48, -v9
	v_fmac_f16_e32 v41, v13, v6
	v_fma_f16 v6, v13, v51, -v43
	v_mul_f16_e32 v13, v114, v52
	v_mul_f16_e32 v19, v114, v27
	v_add_f16_e32 v43, v0, v78
	v_fma_f16 v12, -0.5, v12, v0
	v_sub_f16_e32 v46, v3, v8
	v_mul_f16_e32 v26, v113, v53
	v_fmac_f16_e32 v13, v14, v27
	v_fma_f16 v14, v14, v52, -v19
	v_add_f16_e32 v19, v43, v80
	v_fmamk_f16 v27, v46, 0xbb9c, v12
	v_sub_f16_e32 v43, v4, v7
	v_sub_f16_e32 v47, v78, v80
	;; [unrolled: 1-line block ×3, first 2 shown]
	v_add_f16_e32 v50, v78, v40
	v_fmac_f16_e32 v12, 0x3b9c, v46
	v_fmac_f16_e32 v26, v15, v28
	v_mul_f16_e32 v28, v113, v28
	v_add_f16_e32 v19, v19, v82
	v_fmac_f16_e32 v27, 0xb8b4, v43
	v_add_f16_e32 v47, v47, v48
	v_fma_f16 v0, -0.5, v50, v0
	v_sub_f16_e32 v48, v80, v78
	v_sub_f16_e32 v50, v82, v40
	v_fmac_f16_e32 v12, 0x38b4, v43
	v_add_f16_e32 v51, v39, v3
	v_add_f16_e32 v52, v4, v7
	v_fma_f16 v15, v15, v53, -v28
	v_add_f16_e32 v19, v19, v40
	v_fmac_f16_e32 v27, 0x34f2, v47
	v_fmamk_f16 v28, v43, 0x3b9c, v0
	v_add_f16_e32 v48, v48, v50
	v_fmac_f16_e32 v0, 0xbb9c, v43
	v_add_f16_e32 v43, v51, v4
	v_fma_f16 v50, -0.5, v52, v39
	v_sub_f16_e32 v40, v78, v40
	v_fmac_f16_e32 v12, 0x34f2, v47
	v_add_f16_e32 v47, v3, v8
	v_sub_f16_e32 v52, v3, v4
	v_sub_f16_e32 v3, v4, v3
	;; [unrolled: 1-line block ×3, first 2 shown]
	v_fmac_f16_e32 v28, 0xb8b4, v46
	v_fmac_f16_e32 v0, 0x38b4, v46
	v_add_f16_e32 v43, v43, v7
	v_fmamk_f16 v46, v40, 0x3b9c, v50
	v_sub_f16_e32 v51, v80, v82
	v_sub_f16_e32 v53, v8, v7
	v_fmac_f16_e32 v39, -0.5, v47
	v_fmac_f16_e32 v50, 0xbb9c, v40
	v_add_f16_e32 v7, v16, v42
	v_add_f16_e32 v3, v3, v4
	;; [unrolled: 1-line block ×3, first 2 shown]
	v_lshrrev_b32_e32 v44, 16, v1
	v_fmac_f16_e32 v28, 0x34f2, v48
	v_fmac_f16_e32 v0, 0x34f2, v48
	v_add_f16_e32 v43, v43, v8
	v_fmac_f16_e32 v46, 0x38b4, v51
	v_add_f16_e32 v47, v52, v53
	v_fmamk_f16 v48, v51, 0xbb9c, v39
	v_fmac_f16_e32 v50, 0xb8b4, v51
	v_fma_f16 v7, -0.5, v7, v1
	v_sub_f16_e32 v8, v10, v9
	v_fmac_f16_e32 v39, 0x3b9c, v51
	v_add_f16_e32 v4, v4, v16
	v_add_f16_e32 v78, v79, v45
	v_fmac_f16_e32 v46, 0x34f2, v47
	v_fmac_f16_e32 v48, 0x38b4, v40
	;; [unrolled: 1-line block ×3, first 2 shown]
	v_fmamk_f16 v47, v8, 0xbb9c, v7
	v_sub_f16_e32 v51, v5, v17
	v_sub_f16_e32 v52, v79, v16
	;; [unrolled: 1-line block ×3, first 2 shown]
	v_fmac_f16_e32 v39, 0xb8b4, v40
	v_add_f16_e32 v4, v4, v42
	v_fmac_f16_e32 v1, -0.5, v78
	v_fmac_f16_e32 v7, 0x3b9c, v8
	v_add_f16_e32 v78, v44, v10
	v_fmac_f16_e32 v48, 0x34f2, v3
	v_fmac_f16_e32 v47, 0xb8b4, v51
	v_add_f16_e32 v40, v52, v53
	v_fmac_f16_e32 v39, 0x34f2, v3
	v_add_f16_e32 v3, v4, v45
	v_fmamk_f16 v4, v51, 0x3b9c, v1
	v_sub_f16_e32 v52, v16, v79
	v_sub_f16_e32 v53, v42, v45
	v_fmac_f16_e32 v7, 0x38b4, v51
	v_add_f16_e32 v80, v5, v17
	v_fmac_f16_e32 v1, 0xbb9c, v51
	v_add_f16_e32 v51, v78, v5
	;; [unrolled: 2-line block ×3, first 2 shown]
	v_fma_f16 v53, -0.5, v80, v44
	v_sub_f16_e32 v45, v79, v45
	v_fmac_f16_e32 v1, 0x38b4, v8
	v_add_f16_e32 v8, v51, v17
	v_add_f16_e32 v51, v10, v9
	v_fmac_f16_e32 v47, 0x34f2, v40
	v_fmac_f16_e32 v7, 0x34f2, v40
	v_fmamk_f16 v40, v45, 0x3b9c, v53
	v_sub_f16_e32 v16, v16, v42
	v_sub_f16_e32 v42, v10, v5
	;; [unrolled: 1-line block ×3, first 2 shown]
	v_fmac_f16_e32 v44, -0.5, v51
	v_add_f16_e32 v8, v8, v9
	v_fmac_f16_e32 v53, 0xbb9c, v45
	v_sub_f16_e32 v5, v5, v10
	v_sub_f16_e32 v9, v17, v9
	v_add_f16_e32 v10, v41, v13
	v_fmac_f16_e32 v40, 0x38b4, v16
	v_add_f16_e32 v42, v42, v78
	v_fmamk_f16 v51, v16, 0xbb9c, v44
	v_fmac_f16_e32 v53, 0xb8b4, v16
	v_add_f16_e32 v5, v5, v9
	v_fmac_f16_e32 v44, 0x3b9c, v16
	v_add_f16_e32 v9, v2, v18
	v_fma_f16 v10, -0.5, v10, v2
	v_sub_f16_e32 v16, v11, v15
	v_fmac_f16_e32 v4, 0x34f2, v52
	v_fmac_f16_e32 v1, 0x34f2, v52
	;; [unrolled: 1-line block ×6, first 2 shown]
	v_add_f16_e32 v9, v9, v41
	v_fmamk_f16 v17, v16, 0xbb9c, v10
	v_sub_f16_e32 v42, v6, v14
	v_sub_f16_e32 v45, v18, v41
	;; [unrolled: 1-line block ×3, first 2 shown]
	v_fmac_f16_e32 v10, 0x3b9c, v16
	v_add_f16_e32 v78, v18, v26
	v_lshrrev_b32_e32 v49, 16, v2
	v_add_f16_e32 v9, v9, v13
	v_fmac_f16_e32 v17, 0xb8b4, v42
	v_add_f16_e32 v45, v45, v52
	v_fmac_f16_e32 v10, 0x38b4, v42
	v_fmac_f16_e32 v2, -0.5, v78
	v_sub_f16_e32 v52, v41, v18
	v_sub_f16_e32 v78, v13, v26
	v_fmac_f16_e32 v51, 0x34f2, v5
	v_fmac_f16_e32 v44, 0x34f2, v5
	v_add_f16_e32 v5, v9, v26
	v_fmac_f16_e32 v17, 0x34f2, v45
	v_fmac_f16_e32 v10, 0x34f2, v45
	v_fmamk_f16 v9, v42, 0x3b9c, v2
	v_add_f16_e32 v45, v6, v14
	v_fmac_f16_e32 v2, 0xbb9c, v42
	v_sub_f16_e32 v18, v18, v26
	v_add_f16_e32 v26, v52, v78
	v_add_f16_e32 v52, v11, v15
	;; [unrolled: 1-line block ×3, first 2 shown]
	v_fma_f16 v45, -0.5, v45, v49
	v_fmac_f16_e32 v9, 0xb8b4, v16
	v_fmac_f16_e32 v2, 0x38b4, v16
	v_sub_f16_e32 v13, v41, v13
	v_fmac_f16_e32 v49, -0.5, v52
	v_add_f16_e32 v16, v42, v6
	v_fmac_f16_e32 v9, 0x34f2, v26
	v_fmac_f16_e32 v2, 0x34f2, v26
	v_sub_f16_e32 v26, v11, v6
	v_fmamk_f16 v52, v13, 0xbb9c, v49
	v_sub_f16_e32 v6, v6, v11
	v_sub_f16_e32 v11, v14, v15
	v_fmac_f16_e32 v49, 0x3b9c, v13
	v_fmamk_f16 v42, v18, 0x3b9c, v45
	v_sub_f16_e32 v41, v15, v14
	v_fmac_f16_e32 v45, 0xbb9c, v18
	v_fmac_f16_e32 v52, 0x38b4, v18
	v_add_f16_e32 v6, v6, v11
	v_fmac_f16_e32 v49, 0xb8b4, v18
	v_add_f16_e32 v16, v16, v14
	;; [unrolled: 2-line block ×3, first 2 shown]
	v_fmac_f16_e32 v45, 0xb8b4, v13
	v_fmac_f16_e32 v52, 0x34f2, v6
	;; [unrolled: 1-line block ×3, first 2 shown]
	v_pack_b32_f16 v6, v19, v43
	v_pack_b32_f16 v13, v27, v46
	v_fmac_f16_e32 v42, 0x34f2, v14
	v_fmac_f16_e32 v45, 0x34f2, v14
	v_pack_b32_f16 v14, v28, v48
	v_pack_b32_f16 v0, v0, v39
	v_add_f16_e32 v11, v16, v15
	v_pack_b32_f16 v12, v12, v50
	v_pack_b32_f16 v3, v3, v8
	ds_store_2addr_b32 v54, v6, v13 offset1:55
	ds_store_2addr_b32 v54, v14, v0 offset0:110 offset1:165
	ds_store_2addr_b32 v25, v12, v3 offset0:92 offset1:147
	v_pack_b32_f16 v0, v47, v40
	v_pack_b32_f16 v3, v4, v51
	;; [unrolled: 1-line block ×6, first 2 shown]
	v_add_nc_u32_e32 v7, 0x800, v89
	v_pack_b32_f16 v8, v9, v52
	v_pack_b32_f16 v2, v2, v49
	;; [unrolled: 1-line block ×3, first 2 shown]
	ds_store_2addr_b32 v24, v0, v3 offset0:74 offset1:129
	ds_store_2addr_b32 v24, v1, v4 offset0:184 offset1:239
	;; [unrolled: 1-line block ×4, first 2 shown]
	ds_store_b32 v89, v9 offset:3080
	global_wb scope:SCOPE_SE
	s_wait_dscnt 0x0
	s_barrier_signal -1
	s_barrier_wait -1
	global_inv scope:SCOPE_SE
	ds_load_2addr_b32 v[0:1], v54 offset1:55
	ds_load_2addr_b32 v[2:3], v25 offset0:92 offset1:147
	ds_load_2addr_b32 v[4:5], v23 offset0:38 offset1:93
	;; [unrolled: 1-line block ×6, first 2 shown]
	ds_load_b32 v14, v54 offset:3080
	s_wait_dscnt 0x7
	v_lshrrev_b32_e32 v15, 16, v0
	s_wait_dscnt 0x6
	v_lshrrev_b32_e32 v16, 16, v3
	;; [unrolled: 2-line block ×4, first 2 shown]
	v_mul_f16_e32 v46, v103, v3
	v_lshrrev_b32_e32 v26, 16, v5
	v_mul_f16_e32 v44, v103, v16
	v_mul_f16_e32 v48, v101, v17
	v_lshrrev_b32_e32 v28, 16, v7
	v_fma_f16 v16, v33, v16, -v46
	s_wait_dscnt 0x2
	v_lshrrev_b32_e32 v39, 16, v10
	v_fmac_f16_e32 v44, v33, v3
	v_mul_f16_e32 v3, v101, v4
	v_mul_f16_e32 v33, v100, v19
	v_fmac_f16_e32 v48, v34, v4
	v_mul_f16_e32 v4, v100, v6
	s_wait_dscnt 0x1
	v_lshrrev_b32_e32 v41, 16, v12
	v_fma_f16 v3, v34, v17, -v3
	v_mul_f16_e32 v17, v98, v26
	v_fmac_f16_e32 v33, v35, v6
	v_mul_f16_e32 v6, v98, v5
	v_fma_f16 v4, v35, v19, -v4
	v_mul_f16_e32 v19, v97, v28
	v_fmac_f16_e32 v17, v36, v5
	v_mul_f16_e32 v5, v97, v7
	v_fma_f16 v6, v36, v26, -v6
	v_mul_f16_e32 v26, v96, v39
	v_lshrrev_b32_e32 v42, 16, v11
	v_lshrrev_b32_e32 v45, 16, v13
	v_fmac_f16_e32 v19, v37, v7
	v_mul_f16_e32 v7, v96, v10
	v_fma_f16 v5, v37, v28, -v5
	v_mul_f16_e32 v28, v95, v41
	v_fmac_f16_e32 v26, v38, v10
	v_mul_f16_e32 v10, v95, v12
	v_mul_f16_e32 v34, v93, v42
	s_wait_dscnt 0x0
	v_lshrrev_b32_e32 v47, 16, v14
	v_fmac_f16_e32 v28, v31, v12
	v_mul_f16_e32 v12, v93, v11
	v_fma_f16 v10, v31, v41, -v10
	v_mul_f16_e32 v31, v92, v45
	v_fmac_f16_e32 v34, v32, v11
	v_mul_f16_e32 v11, v92, v13
	v_fma_f16 v12, v32, v42, -v12
	v_mul_f16_e32 v32, v91, v47
	v_fmac_f16_e32 v31, v29, v13
	v_mul_f16_e32 v13, v91, v14
	v_fma_f16 v11, v29, v45, -v11
	v_add_f16_e32 v29, v44, v48
	v_fmac_f16_e32 v32, v30, v14
	v_add_f16_e32 v14, v0, v44
	v_fma_f16 v13, v30, v47, -v13
	v_add_f16_e32 v30, v16, v3
	v_fma_f16 v0, -0.5, v29, v0
	v_sub_f16_e32 v29, v16, v3
	v_add_f16_e32 v16, v15, v16
	v_lshrrev_b32_e32 v18, 16, v1
	v_fmac_f16_e32 v15, -0.5, v30
	v_sub_f16_e32 v30, v44, v48
	v_fmamk_f16 v35, v29, 0xbaee, v0
	v_add_f16_e32 v3, v16, v3
	v_add_f16_e32 v16, v33, v17
	v_fmac_f16_e32 v0, 0x3aee, v29
	v_fmamk_f16 v29, v30, 0x3aee, v15
	v_add_f16_e32 v36, v1, v33
	v_fmac_f16_e32 v15, 0xbaee, v30
	v_add_f16_e32 v30, v4, v6
	v_fmac_f16_e32 v1, -0.5, v16
	v_sub_f16_e32 v16, v4, v6
	v_add_f16_e32 v4, v18, v4
	v_fma_f16 v7, v38, v39, -v7
	v_add_f16_e32 v36, v36, v17
	v_fmac_f16_e32 v18, -0.5, v30
	v_sub_f16_e32 v17, v33, v17
	v_lshrrev_b32_e32 v27, 16, v8
	v_add_f16_e32 v4, v4, v6
	v_add_f16_e32 v6, v19, v26
	v_fmamk_f16 v30, v16, 0xbaee, v1
	v_fmac_f16_e32 v1, 0x3aee, v16
	v_fmamk_f16 v16, v17, 0x3aee, v18
	v_fmac_f16_e32 v18, 0xbaee, v17
	v_add_f16_e32 v17, v5, v7
	v_add_f16_e32 v33, v8, v19
	v_fma_f16 v6, -0.5, v6, v8
	v_sub_f16_e32 v8, v5, v7
	v_add_f16_e32 v5, v27, v5
	v_fmac_f16_e32 v27, -0.5, v17
	v_sub_f16_e32 v17, v19, v26
	v_lshrrev_b32_e32 v40, 16, v9
	v_fmamk_f16 v19, v8, 0xbaee, v6
	v_add_f16_e32 v5, v5, v7
	v_add_f16_e32 v7, v28, v34
	v_fmac_f16_e32 v6, 0x3aee, v8
	v_fmamk_f16 v8, v17, 0x3aee, v27
	v_fmac_f16_e32 v27, 0xbaee, v17
	v_add_f16_e32 v17, v10, v12
	v_add_f16_e32 v33, v33, v26
	v_add_f16_e32 v26, v9, v28
	v_fmac_f16_e32 v9, -0.5, v7
	v_sub_f16_e32 v7, v10, v12
	v_add_f16_e32 v10, v40, v10
	v_fmac_f16_e32 v40, -0.5, v17
	v_sub_f16_e32 v17, v28, v34
	v_lshrrev_b32_e32 v43, 16, v2
	v_fmamk_f16 v28, v7, 0xbaee, v9
	v_fmac_f16_e32 v9, 0x3aee, v7
	v_add_f16_e32 v7, v10, v12
	v_add_f16_e32 v10, v31, v32
	v_fmamk_f16 v12, v17, 0x3aee, v40
	v_fmac_f16_e32 v40, 0xbaee, v17
	v_add_f16_e32 v17, v11, v13
	v_add_f16_e32 v14, v14, v48
	;; [unrolled: 1-line block ×4, first 2 shown]
	v_fmac_f16_e32 v2, -0.5, v10
	v_sub_f16_e32 v10, v11, v13
	v_add_f16_e32 v11, v43, v11
	v_fmac_f16_e32 v43, -0.5, v17
	v_sub_f16_e32 v17, v31, v32
	v_add_f16_e32 v31, v34, v32
	v_fmamk_f16 v32, v10, 0xbaee, v2
	v_fmac_f16_e32 v2, 0x3aee, v10
	v_add_f16_e32 v10, v11, v13
	v_pack_b32_f16 v3, v14, v3
	v_pack_b32_f16 v13, v35, v29
	;; [unrolled: 1-line block ×8, first 2 shown]
	v_fmamk_f16 v11, v17, 0x3aee, v43
	v_fmac_f16_e32 v43, 0xbaee, v17
	ds_store_b32 v54, v13 offset:1100
	ds_store_b32 v54, v0 offset:2200
	ds_store_2addr_b32 v54, v3, v4 offset1:55
	v_pack_b32_f16 v0, v33, v5
	ds_store_2addr_b32 v24, v14, v8 offset0:74 offset1:129
	ds_store_2addr_b32 v23, v1, v6 offset0:93 offset1:148
	v_pack_b32_f16 v1, v26, v7
	v_pack_b32_f16 v4, v9, v40
	v_pack_b32_f16 v5, v31, v10
	v_pack_b32_f16 v3, v28, v12
	v_pack_b32_f16 v6, v32, v11
	v_pack_b32_f16 v2, v2, v43
	ds_store_2addr_b32 v54, v0, v1 offset0:110 offset1:165
	ds_store_b32 v54, v4 offset:2860
	ds_store_b32 v54, v5 offset:880
	ds_store_2addr_b32 v24, v3, v6 offset0:184 offset1:239
	ds_store_b32 v54, v2 offset:3080
	global_wb scope:SCOPE_SE
	s_wait_dscnt 0x0
	s_barrier_signal -1
	s_barrier_wait -1
	global_inv scope:SCOPE_SE
	ds_load_2addr_b32 v[0:1], v54 offset1:75
	s_wait_dscnt 0x0
	v_lshrrev_b32_e32 v4, 16, v0
	s_delay_alu instid0(VALU_DEP_1) | instskip(NEXT) | instid1(VALU_DEP_1)
	v_mul_f16_e32 v2, v77, v4
	v_fmac_f16_e32 v2, v75, v0
	v_mul_f16_e32 v0, v77, v0
	s_delay_alu instid0(VALU_DEP_2) | instskip(NEXT) | instid1(VALU_DEP_2)
	v_cvt_f32_f16_e32 v2, v2
	v_fma_f16 v0, v75, v4, -v0
	s_delay_alu instid0(VALU_DEP_2) | instskip(NEXT) | instid1(VALU_DEP_2)
	v_cvt_f64_f32_e32 v[2:3], v2
	v_cvt_f32_f16_e32 v0, v0
	s_delay_alu instid0(VALU_DEP_1) | instskip(SKIP_1) | instid1(VALU_DEP_1)
	v_cvt_f64_f32_e32 v[4:5], v0
	v_lshrrev_b32_e32 v0, 16, v1
	v_mul_f16_e32 v6, v76, v0
	s_delay_alu instid0(VALU_DEP_1) | instskip(SKIP_1) | instid1(VALU_DEP_2)
	v_fmac_f16_e32 v6, v73, v1
	v_mul_f16_e32 v1, v76, v1
	v_cvt_f32_f16_e32 v6, v6
	s_delay_alu instid0(VALU_DEP_2) | instskip(NEXT) | instid1(VALU_DEP_2)
	v_fma_f16 v0, v73, v0, -v1
	v_cvt_f64_f32_e32 v[6:7], v6
	s_wait_alu 0xfffe
	v_mul_f64_e32 v[2:3], s[8:9], v[2:3]
	v_mul_f64_e32 v[4:5], s[8:9], v[4:5]
	s_delay_alu instid0(VALU_DEP_2) | instskip(SKIP_2) | instid1(VALU_DEP_3)
	v_and_or_b32 v2, 0x1ff, v3, v2
	v_lshrrev_b32_e32 v8, 8, v3
	v_bfe_u32 v9, v3, 20, 11
	v_cmp_ne_u32_e64 s0, 0, v2
	v_and_or_b32 v4, 0x1ff, v5, v4
	v_bfe_u32 v13, v5, 20, 11
	s_delay_alu instid0(VALU_DEP_4)
	v_add_nc_u32_e32 v14, 0xfffffc10, v9
	v_lshrrev_b32_e32 v11, 8, v5
	s_wait_alu 0xf1ff
	v_cndmask_b32_e64 v2, 0, 1, s0
	v_cmp_ne_u32_e64 s0, 0, v4
	v_sub_nc_u32_e32 v1, 0x3f1, v13
	v_lshrrev_b32_e32 v5, 16, v5
	s_delay_alu instid0(VALU_DEP_4)
	v_and_or_b32 v12, 0xffe, v8, v2
	v_sub_nc_u32_e32 v2, 0x3f1, v9
	s_wait_alu 0xf1ff
	v_cndmask_b32_e64 v4, 0, 1, s0
	v_cvt_f32_f16_e32 v9, v0
	v_or_b32_e32 v8, 0x1000, v12
	v_med3_i32 v2, v2, 0, 13
	s_delay_alu instid0(VALU_DEP_4) | instskip(NEXT) | instid1(VALU_DEP_2)
	v_and_or_b32 v4, 0xffe, v11, v4
	v_lshrrev_b32_e32 v10, v2, v8
	s_delay_alu instid0(VALU_DEP_2) | instskip(NEXT) | instid1(VALU_DEP_2)
	v_or_b32_e32 v15, 0x1000, v4
	v_lshlrev_b32_e32 v2, v2, v10
	s_delay_alu instid0(VALU_DEP_1) | instskip(SKIP_2) | instid1(VALU_DEP_2)
	v_cmp_ne_u32_e64 s0, v2, v8
	v_lshl_or_b32 v8, v14, 12, v12
	s_wait_alu 0xf1ff
	v_cndmask_b32_e64 v2, 0, 1, s0
	v_cmp_gt_i32_e64 s0, 1, v14
	s_delay_alu instid0(VALU_DEP_2)
	v_or_b32_e32 v2, v10, v2
	v_med3_i32 v10, v1, 0, 13
	v_mul_f64_e32 v[0:1], s[8:9], v[6:7]
	v_cvt_f64_f32_e32 v[6:7], v9
	s_wait_alu 0xf1ff
	v_cndmask_b32_e64 v16, v8, v2, s0
	v_mad_co_u64_u32 v[8:9], null, s6, v22, 0
	v_lshrrev_b32_e32 v17, v10, v15
	s_delay_alu instid0(VALU_DEP_3) | instskip(NEXT) | instid1(VALU_DEP_2)
	v_and_b32_e32 v18, 7, v16
	v_dual_mov_b32 v2, v9 :: v_dual_lshlrev_b32 v19, v10, v17
	s_delay_alu instid0(VALU_DEP_2)
	v_cmp_lt_i32_e64 s0, 5, v18
	v_cmp_eq_u32_e64 s1, 3, v18
	v_lshrrev_b32_e32 v9, 2, v16
	ds_load_2addr_b32 v[10:11], v54 offset0:150 offset1:225
	v_cmp_ne_u32_e64 s2, v19, v15
	v_add_nc_u32_e32 v16, 0xfffffc10, v13
	s_or_b32 s0, s1, s0
	v_lshrrev_b32_e32 v19, 16, v3
	s_wait_alu 0xfffe
	v_add_co_ci_u32_e64 v9, s0, 0, v9, s0
	v_cmp_ne_u32_e64 s0, 0, v12
	v_cndmask_b32_e64 v15, 0, 1, s2
	s_wait_alu 0xf1ff
	s_delay_alu instid0(VALU_DEP_2) | instskip(SKIP_1) | instid1(VALU_DEP_3)
	v_cndmask_b32_e64 v12, 0, 1, s0
	v_cmp_gt_i32_e64 s0, 31, v14
	v_or_b32_e32 v13, v17, v15
	v_lshl_or_b32 v15, v16, 12, v4
	s_delay_alu instid0(VALU_DEP_4)
	v_lshl_or_b32 v17, v12, 9, 0x7c00
	s_wait_alu 0xf1ff
	v_cndmask_b32_e64 v9, 0x7c00, v9, s0
	v_cmp_gt_i32_e64 s0, 1, v16
	s_wait_dscnt 0x0
	v_lshrrev_b32_e32 v18, 16, v10
	v_and_or_b32 v0, 0x1ff, v1, v0
	s_wait_alu 0xf1ff
	v_cndmask_b32_e64 v15, v15, v13, s0
	v_cmp_eq_u32_e64 s0, 0x40f, v14
	v_mad_co_u64_u32 v[12:13], null, s7, v22, v[2:3]
	v_mul_f64_e32 v[2:3], s[8:9], v[6:7]
	s_delay_alu instid0(VALU_DEP_4)
	v_and_b32_e32 v13, 7, v15
	s_wait_alu 0xf1ff
	v_cndmask_b32_e64 v17, v9, v17, s0
	v_mul_f16_e32 v9, v74, v18
	v_cmp_ne_u32_e64 s1, 0, v0
	v_lshrrev_b32_e32 v6, 8, v1
	v_cmp_lt_i32_e64 s0, 5, v13
	v_bfe_u32 v22, v1, 20, 11
	v_fmac_f16_e32 v9, v71, v10
	s_wait_alu 0xf1ff
	v_cndmask_b32_e64 v0, 0, 1, s1
	v_cmp_eq_u32_e64 s1, 3, v13
	v_mad_co_u64_u32 v[13:14], null, s4, v70, 0
	v_cvt_f32_f16_e32 v7, v9
	v_lshrrev_b32_e32 v9, 2, v15
	v_and_or_b32 v26, 0xffe, v6, v0
	s_or_b32 s0, s1, s0
	v_sub_nc_u32_e32 v0, 0x3f1, v22
	v_cvt_f64_f32_e32 v[6:7], v7
	s_wait_alu 0xfffe
	v_add_co_ci_u32_e64 v9, s0, 0, v9, s0
	v_cmp_ne_u32_e64 s0, 0, v4
	v_or_b32_e32 v15, 0x1000, v26
	v_med3_i32 v0, v0, 0, 13
	v_and_or_b32 v17, 0x8000, v19, v17
	s_mul_u64 s[6:7], s[4:5], 0x4b
	v_cndmask_b32_e64 v4, 0, 1, s0
	v_cmp_gt_i32_e64 s0, 31, v16
	v_lshrrev_b32_e32 v27, v0, v15
	s_wait_alu 0xfffe
	s_lshl_b64 s[6:7], s[6:7], 2
	v_lshl_or_b32 v4, v4, 9, 0x7c00
	v_cndmask_b32_e64 v9, 0x7c00, v9, s0
	v_cmp_eq_u32_e64 s0, 0x40f, v16
	s_wait_alu 0xf1ff
	s_delay_alu instid0(VALU_DEP_1)
	v_cndmask_b32_e64 v4, v9, v4, s0
	v_mov_b32_e32 v9, v12
	v_lshlrev_b32_e32 v12, v0, v27
	v_mov_b32_e32 v0, v14
	v_and_or_b32 v2, 0x1ff, v3, v2
	v_and_or_b32 v19, 0x8000, v5, v4
	v_mul_f16_e32 v4, v74, v10
	v_cmp_ne_u32_e64 s0, v12, v15
	v_add_nc_u32_e32 v12, 0xfffffc10, v22
	v_bfe_u32 v22, v3, 20, 11
	s_delay_alu instid0(VALU_DEP_4)
	v_fma_f16 v14, v71, v18, -v4
	s_wait_alu 0xf1ff
	v_cndmask_b32_e64 v10, 0, 1, s0
	v_cmp_ne_u32_e64 s0, 0, v2
	v_mad_co_u64_u32 v[4:5], null, s5, v70, v[0:1]
	v_cvt_f32_f16_e32 v14, v14
	s_delay_alu instid0(VALU_DEP_4)
	v_or_b32_e32 v0, v27, v10
	v_lshl_or_b32 v10, v12, 12, v26
	s_wait_alu 0xf1ff
	v_cndmask_b32_e64 v2, 0, 1, s0
	v_mul_f64_e32 v[5:6], s[8:9], v[6:7]
	v_cvt_f64_f32_e32 v[15:16], v14
	v_mov_b32_e32 v14, v4
	v_cmp_gt_i32_e64 s0, 1, v12
	v_lshrrev_b32_e32 v18, 8, v3
	v_and_b32_e32 v7, 0xffff, v17
	s_wait_alu 0xf1ff
	s_delay_alu instid0(VALU_DEP_3) | instskip(NEXT) | instid1(VALU_DEP_3)
	v_cndmask_b32_e64 v0, v10, v0, s0
	v_and_or_b32 v2, 0xffe, v18, v2
	v_sub_nc_u32_e32 v10, 0x3f1, v22
	v_lshl_or_b32 v17, v19, 16, v7
	v_lshlrev_b64_e32 v[7:8], 2, v[8:9]
	v_and_b32_e32 v4, 7, v0
	v_or_b32_e32 v18, 0x1000, v2
	v_med3_i32 v10, v10, 0, 13
	v_lshrrev_b32_e32 v0, 2, v0
	s_delay_alu instid0(VALU_DEP_4) | instskip(SKIP_1) | instid1(VALU_DEP_4)
	v_cmp_lt_i32_e64 s0, 5, v4
	v_cmp_eq_u32_e64 s1, 3, v4
	v_lshrrev_b32_e32 v4, v10, v18
	v_add_co_u32 v19, s2, s10, v7
	s_wait_alu 0xf1ff
	v_add_co_ci_u32_e64 v27, s2, s11, v8, s2
	s_or_b32 s0, s1, s0
	v_lshlrev_b32_e32 v9, v10, v4
	s_wait_alu 0xfffe
	v_add_co_ci_u32_e64 v0, s0, 0, v0, s0
	v_cmp_gt_i32_e64 s0, 31, v12
	v_lshlrev_b64_e32 v[7:8], 2, v[13:14]
	v_lshrrev_b32_e32 v13, 16, v11
	v_add_nc_u32_e32 v14, 0xfffffc10, v22
	s_wait_alu 0xf1ff
	v_cndmask_b32_e64 v0, 0x7c00, v0, s0
	v_cmp_ne_u32_e64 s0, v9, v18
	v_mul_f16_e32 v10, v72, v13
	v_lshl_or_b32 v22, v14, 12, v2
	s_wait_alu 0xf1ff
	s_delay_alu instid0(VALU_DEP_3) | instskip(SKIP_3) | instid1(VALU_DEP_4)
	v_cndmask_b32_e64 v9, 0, 1, s0
	v_cmp_ne_u32_e64 s0, 0, v26
	v_and_or_b32 v26, 0x1ff, v6, v5
	v_fmac_f16_e32 v10, v69, v11
	v_or_b32_e32 v9, v4, v9
	v_mul_f64_e32 v[4:5], s[8:9], v[15:16]
	s_wait_alu 0xf1ff
	v_cndmask_b32_e64 v18, 0, 1, s0
	v_cmp_gt_i32_e64 s0, 1, v14
	s_delay_alu instid0(VALU_DEP_2) | instskip(SKIP_1) | instid1(VALU_DEP_2)
	v_lshl_or_b32 v15, v18, 9, 0x7c00
	s_wait_alu 0xf1ff
	v_cndmask_b32_e64 v16, v22, v9, s0
	v_cvt_f32_f16_e32 v9, v10
	v_cmp_ne_u32_e64 s0, 0, v26
	v_bfe_u32 v26, v6, 20, 11
	v_lshrrev_b32_e32 v22, 8, v6
	v_and_b32_e32 v28, 7, v16
	v_cvt_f64_f32_e32 v[9:10], v9
	s_wait_alu 0xf1ff
	v_cndmask_b32_e64 v18, 0, 1, s0
	v_cmp_eq_u32_e64 s0, 0x40f, v12
	v_lshrrev_b32_e32 v6, 16, v6
	v_cmp_eq_u32_e64 s1, 3, v28
	s_wait_alu 0xf1ff
	s_delay_alu instid0(VALU_DEP_3) | instskip(SKIP_4) | instid1(VALU_DEP_4)
	v_cndmask_b32_e64 v12, v0, v15, s0
	v_sub_nc_u32_e32 v0, 0x3f1, v26
	v_and_or_b32 v15, 0xffe, v22, v18
	v_cmp_lt_i32_e64 s0, 5, v28
	v_lshrrev_b32_e32 v18, 16, v1
	v_med3_i32 v28, v0, 0, 13
	v_add_co_u32 v0, s2, v19, v7
	v_lshrrev_b32_e32 v7, 2, v16
	v_or_b32_e32 v22, 0x1000, v15
	s_or_b32 s0, s1, s0
	v_add_co_ci_u32_e64 v1, s2, v27, v8, s2
	s_wait_alu 0xfffe
	v_add_co_ci_u32_e64 v7, s0, 0, v7, s0
	v_lshrrev_b32_e32 v16, v28, v22
	v_cmp_ne_u32_e64 s0, 0, v2
	v_mul_f16_e32 v8, v72, v11
	v_and_or_b32 v12, 0x8000, v18, v12
	v_and_or_b32 v4, 0x1ff, v5, v4
	v_lshlrev_b32_e32 v11, v28, v16
	s_wait_alu 0xf1ff
	v_cndmask_b32_e64 v2, 0, 1, s0
	v_cmp_gt_i32_e64 s0, 31, v14
	global_store_b32 v[0:1], v17, off
	v_and_b32_e32 v12, 0xffff, v12
	v_lshl_or_b32 v2, v2, 9, 0x7c00
	s_wait_alu 0xf1ff
	v_cndmask_b32_e64 v18, 0x7c00, v7, s0
	v_cmp_ne_u32_e64 s0, v11, v22
	v_fma_f16 v7, v69, v13, -v8
	v_add_nc_u32_e32 v13, 0xfffffc10, v26
	v_lshrrev_b32_e32 v22, 8, v5
	v_bfe_u32 v26, v5, 20, 11
	s_wait_alu 0xf1ff
	v_cndmask_b32_e64 v11, 0, 1, s0
	v_cmp_ne_u32_e64 s0, 0, v4
	v_cvt_f32_f16_e32 v19, v7
	v_mul_f64_e32 v[7:8], s[8:9], v[9:10]
	s_delay_alu instid0(VALU_DEP_4)
	v_or_b32_e32 v11, v16, v11
	s_wait_alu 0xf1ff
	v_cndmask_b32_e64 v4, 0, 1, s0
	v_cmp_eq_u32_e64 s0, 0x40f, v14
	v_cvt_f64_f32_e32 v[9:10], v19
	v_lshl_or_b32 v16, v13, 12, v15
	s_delay_alu instid0(VALU_DEP_4)
	v_and_or_b32 v4, 0xffe, v22, v4
	s_wait_alu 0xf1ff
	v_cndmask_b32_e64 v14, v18, v2, s0
	v_sub_nc_u32_e32 v2, 0x3f1, v26
	v_cmp_gt_i32_e64 s0, 1, v13
	v_lshrrev_b32_e32 v18, 16, v3
	v_or_b32_e32 v19, 0x1000, v4
	s_delay_alu instid0(VALU_DEP_4)
	v_med3_i32 v22, v2, 0, 13
	s_wait_alu 0xf1ff
	v_cndmask_b32_e64 v11, v16, v11, s0
	ds_load_2addr_b32 v[2:3], v24 offset0:44 offset1:119
	v_and_or_b32 v14, 0x8000, v18, v14
	v_lshrrev_b32_e32 v16, v22, v19
	v_and_b32_e32 v18, 7, v11
	v_lshrrev_b32_e32 v11, 2, v11
	s_delay_alu instid0(VALU_DEP_3) | instskip(NEXT) | instid1(VALU_DEP_3)
	v_lshlrev_b32_e32 v17, v22, v16
	v_cmp_lt_i32_e64 s0, 5, v18
	v_cmp_eq_u32_e64 s1, 3, v18
	v_lshl_or_b32 v22, v14, 16, v12
	v_add_nc_u32_e32 v14, 0xfffffc10, v26
	v_cmp_ne_u32_e64 s2, v17, v19
	s_delay_alu instid0(VALU_DEP_4) | instskip(SKIP_2) | instid1(VALU_DEP_2)
	s_or_b32 s0, s1, s0
	s_wait_alu 0xfffe
	v_add_co_ci_u32_e64 v11, s0, 0, v11, s0
	v_cndmask_b32_e64 v12, 0, 1, s2
	v_cmp_ne_u32_e64 s0, 0, v15
	s_wait_dscnt 0x0
	v_lshrrev_b32_e32 v17, 16, v2
	v_and_or_b32 v7, 0x1ff, v8, v7
	v_cmp_eq_u32_e64 s2, 0x40f, v13
	v_or_b32_e32 v12, v16, v12
	v_lshl_or_b32 v16, v14, 12, v4
	s_wait_alu 0xf1ff
	v_cndmask_b32_e64 v15, 0, 1, s0
	v_cmp_gt_i32_e64 s0, 1, v14
	v_mul_f64_e32 v[9:10], s[8:9], v[9:10]
	v_lshrrev_b32_e32 v19, 8, v8
	v_bfe_u32 v26, v8, 20, 11
	v_lshl_or_b32 v15, v15, 9, 0x7c00
	s_wait_alu 0xf1ff
	v_cndmask_b32_e64 v16, v16, v12, s0
	v_mul_f16_e32 v12, v68, v17
	v_cmp_gt_i32_e64 s0, 31, v13
	v_lshrrev_b32_e32 v8, 16, v8
	s_delay_alu instid0(VALU_DEP_3) | instskip(SKIP_1) | instid1(VALU_DEP_3)
	v_fmac_f16_e32 v12, v66, v2
	s_wait_alu 0xf1ff
	v_cndmask_b32_e64 v18, 0x7c00, v11, s0
	v_cmp_ne_u32_e64 s0, 0, v7
	v_and_b32_e32 v11, 7, v16
	v_mul_f16_e32 v2, v68, v2
	v_cvt_f32_f16_e32 v12, v12
	v_cndmask_b32_e64 v13, v18, v15, s2
	s_wait_alu 0xf1ff
	v_cndmask_b32_e64 v7, 0, 1, s0
	v_cmp_lt_i32_e64 s0, 5, v11
	v_cmp_eq_u32_e64 s1, 3, v11
	v_cvt_f64_f32_e32 v[11:12], v12
	v_lshrrev_b32_e32 v15, 2, v16
	v_and_or_b32 v19, 0xffe, v19, v7
	v_sub_nc_u32_e32 v7, 0x3f1, v26
	s_or_b32 s0, s1, s0
	v_and_or_b32 v13, 0x8000, v6, v13
	s_wait_alu 0xfffe
	v_add_co_ci_u32_e64 v15, s0, 0, v15, s0
	v_or_b32_e32 v16, 0x1000, v19
	v_med3_i32 v7, v7, 0, 13
	v_cmp_ne_u32_e64 s0, 0, v4
	v_fma_f16 v2, v66, v17, -v2
	v_add_nc_u32_e32 v17, 0xfffffc10, v26
	s_delay_alu instid0(VALU_DEP_4)
	v_lshrrev_b32_e32 v18, v7, v16
	s_wait_alu 0xf1ff
	v_cndmask_b32_e64 v4, 0, 1, s0
	v_cmp_gt_i32_e64 s0, 31, v14
	v_cvt_f32_f16_e32 v2, v2
	v_lshlrev_b32_e32 v6, v7, v18
	s_delay_alu instid0(VALU_DEP_4) | instskip(SKIP_4) | instid1(VALU_DEP_1)
	v_lshl_or_b32 v4, v4, 9, 0x7c00
	s_wait_alu 0xf1ff
	v_cndmask_b32_e64 v15, 0x7c00, v15, s0
	v_cmp_eq_u32_e64 s0, 0x40f, v14
	s_wait_alu 0xf1ff
	v_cndmask_b32_e64 v14, v15, v4, s0
	v_and_or_b32 v4, 0x1ff, v10, v9
	v_cmp_ne_u32_e64 s0, v6, v16
	v_lshrrev_b32_e32 v9, 16, v5
	v_lshrrev_b32_e32 v6, 8, v10
	v_bfe_u32 v15, v10, 20, 11
	v_lshrrev_b32_e32 v10, 16, v10
	s_wait_alu 0xf1ff
	v_cndmask_b32_e64 v5, 0, 1, s0
	v_cmp_ne_u32_e64 s0, 0, v4
	v_and_or_b32 v9, 0x8000, v9, v14
	v_sub_nc_u32_e32 v26, 0x3f1, v15
	v_add_nc_u32_e32 v15, 0xfffffc10, v15
	v_or_b32_e32 v16, v18, v5
	s_wait_alu 0xf1ff
	v_cndmask_b32_e64 v4, 0, 1, s0
	v_cmp_gt_i32_e64 s0, 1, v17
	s_delay_alu instid0(VALU_DEP_2)
	v_and_or_b32 v18, 0xffe, v6, v4
	v_mul_f64_e32 v[4:5], s[8:9], v[11:12]
	v_cvt_f64_f32_e32 v[6:7], v2
	v_lshl_or_b32 v2, v17, 12, v19
	v_med3_i32 v11, v26, 0, 13
	v_or_b32_e32 v27, 0x1000, v18
	v_and_b32_e32 v12, 0xffff, v13
	v_lshrrev_b32_e32 v26, 16, v3
	s_wait_alu 0xf1ff
	v_cndmask_b32_e64 v2, v2, v16, s0
	v_add_co_u32 v0, s0, v0, s6
	v_lshrrev_b32_e32 v13, v11, v27
	s_wait_alu 0xf1ff
	v_add_co_ci_u32_e64 v1, s0, s7, v1, s0
	v_lshl_or_b32 v16, v9, 16, v12
	v_and_b32_e32 v9, 7, v2
	v_lshlrev_b32_e32 v14, v11, v13
	v_add_co_u32 v11, s0, v0, s6
	s_wait_alu 0xf1ff
	v_add_co_ci_u32_e64 v12, s0, s7, v1, s0
	v_cmp_lt_i32_e64 s0, 5, v9
	v_cmp_eq_u32_e64 s1, 3, v9
	v_lshrrev_b32_e32 v2, 2, v2
	v_cmp_ne_u32_e64 s2, v14, v27
	s_delay_alu instid0(VALU_DEP_3) | instskip(SKIP_1) | instid1(VALU_DEP_2)
	s_or_b32 s0, s1, s0
	s_wait_alu 0xfffe
	v_add_co_ci_u32_e64 v2, s0, 0, v2, s0
	s_delay_alu instid0(VALU_DEP_2) | instskip(SKIP_2) | instid1(VALU_DEP_3)
	v_cndmask_b32_e64 v9, 0, 1, s2
	v_cmp_ne_u32_e64 s0, 0, v19
	v_mul_f16_e32 v19, v67, v26
	v_or_b32_e32 v9, v13, v9
	v_lshl_or_b32 v13, v15, 12, v18
	s_wait_alu 0xf1ff
	v_cndmask_b32_e64 v14, 0, 1, s0
	v_cmp_gt_i32_e64 s0, 1, v15
	v_fmac_f16_e32 v19, v65, v3
	v_and_or_b32 v4, 0x1ff, v5, v4
	v_mul_f64_e32 v[6:7], s[8:9], v[6:7]
	v_lshl_or_b32 v27, v14, 9, 0x7c00
	s_wait_alu 0xf1ff
	v_cndmask_b32_e64 v9, v13, v9, s0
	v_cmp_gt_i32_e64 s0, 31, v17
	v_cvt_f32_f16_e32 v13, v19
	v_lshrrev_b32_e32 v19, 8, v5
	v_bfe_u32 v29, v5, 20, 11
	v_and_b32_e32 v28, 7, v9
	s_wait_alu 0xf1ff
	v_cndmask_b32_e64 v2, 0x7c00, v2, s0
	v_cmp_ne_u32_e64 s0, 0, v4
	v_cvt_f64_f32_e32 v[13:14], v13
	v_mul_f16_e32 v3, v67, v3
	v_cmp_eq_u32_e64 s1, 3, v28
	v_lshrrev_b32_e32 v9, 2, v9
	s_wait_alu 0xf1ff
	v_cndmask_b32_e64 v4, 0, 1, s0
	v_cmp_eq_u32_e64 s0, 0x40f, v17
	v_fma_f16 v3, v65, v26, -v3
	s_delay_alu instid0(VALU_DEP_3) | instskip(SKIP_1) | instid1(VALU_DEP_3)
	v_and_or_b32 v17, 0xffe, v19, v4
	s_wait_alu 0xf1ff
	v_cndmask_b32_e64 v2, v2, v27, s0
	v_cmp_lt_i32_e64 s0, 5, v28
	v_sub_nc_u32_e32 v4, 0x3f1, v29
	v_cvt_f32_f16_e32 v3, v3
	v_or_b32_e32 v19, 0x1000, v17
	v_and_or_b32 v27, 0x8000, v8, v2
	s_or_b32 s0, s1, s0
	v_med3_i32 v4, v4, 0, 13
	s_wait_alu 0xfffe
	v_add_co_ci_u32_e64 v9, s0, 0, v9, s0
	v_cmp_ne_u32_e64 s0, 0, v18
	v_and_b32_e32 v27, 0xffff, v27
	v_lshrrev_b32_e32 v26, v4, v19
	s_wait_alu 0xf1ff
	s_delay_alu instid0(VALU_DEP_3) | instskip(SKIP_1) | instid1(VALU_DEP_3)
	v_cndmask_b32_e64 v18, 0, 1, s0
	v_cmp_gt_i32_e64 s0, 31, v15
	v_lshlrev_b32_e32 v2, v4, v26
	v_cvt_f64_f32_e32 v[3:4], v3
	v_and_or_b32 v6, 0x1ff, v7, v6
	v_lshl_or_b32 v18, v18, 9, 0x7c00
	s_wait_alu 0xf1ff
	v_cndmask_b32_e64 v9, 0x7c00, v9, s0
	v_cmp_eq_u32_e64 s0, 0x40f, v15
	v_lshrrev_b32_e32 v28, 8, v7
	s_wait_alu 0xf1ff
	s_delay_alu instid0(VALU_DEP_2)
	v_cndmask_b32_e64 v15, v9, v18, s0
	v_cmp_ne_u32_e64 s0, v2, v19
	v_mul_f64_e32 v[8:9], s[8:9], v[13:14]
	v_add_nc_u32_e32 v19, 0xfffffc10, v29
	v_bfe_u32 v29, v7, 20, 11
	v_add_nc_u32_e32 v2, 0x600, v54
	s_wait_alu 0xf1ff
	v_cndmask_b32_e64 v18, 0, 1, s0
	v_cmp_ne_u32_e64 s0, 0, v6
	v_and_or_b32 v10, 0x8000, v10, v15
	v_lshrrev_b32_e32 v7, 16, v7
	ds_load_2addr_b32 v[13:14], v2 offset0:66 offset1:141
	v_or_b32_e32 v15, v26, v18
	s_wait_alu 0xf1ff
	v_cndmask_b32_e64 v6, 0, 1, s0
	v_lshl_or_b32 v18, v19, 12, v17
	v_cmp_gt_i32_e64 s0, 1, v19
	s_clause 0x1
	global_store_b32 v[0:1], v22, off
	global_store_b32 v[11:12], v16, off
	v_lshl_or_b32 v16, v10, 16, v27
	v_and_or_b32 v26, 0xffe, v28, v6
	v_sub_nc_u32_e32 v6, 0x3f1, v29
	s_wait_alu 0xf1ff
	v_cndmask_b32_e64 v15, v18, v15, s0
	v_add_co_u32 v0, s0, v11, s6
	v_or_b32_e32 v18, 0x1000, v26
	v_med3_i32 v6, v6, 0, 13
	s_delay_alu instid0(VALU_DEP_4)
	v_and_b32_e32 v10, 7, v15
	s_wait_alu 0xf1ff
	v_add_co_ci_u32_e64 v1, s0, s7, v12, s0
	v_lshrrev_b32_e32 v11, 2, v15
	v_lshrrev_b32_e32 v22, v6, v18
	v_cmp_lt_i32_e64 s0, 5, v10
	v_cmp_eq_u32_e64 s1, 3, v10
	v_mul_f64_e32 v[3:4], s[8:9], v[3:4]
	s_wait_dscnt 0x0
	v_lshrrev_b32_e32 v12, 16, v13
	v_lshlrev_b32_e32 v6, v6, v22
	v_add_nc_u32_e32 v15, 0xfffffc10, v29
	s_or_b32 s0, s1, s0
	global_store_b32 v[0:1], v16, off
	v_mul_f16_e32 v10, v64, v12
	v_cmp_ne_u32_e64 s2, v6, v18
	s_wait_alu 0xfffe
	v_add_co_ci_u32_e64 v18, s0, 0, v11, s0
	v_cmp_ne_u32_e64 s0, 0, v17
	v_and_or_b32 v8, 0x1ff, v9, v8
	s_wait_alu 0xf1ff
	v_cndmask_b32_e64 v6, 0, 1, s2
	v_fmac_f16_e32 v10, v63, v13
	v_bfe_u32 v27, v9, 20, 11
	v_cndmask_b32_e64 v17, 0, 1, s0
	v_cmp_gt_i32_e64 s0, 1, v15
	v_or_b32_e32 v6, v22, v6
	v_lshl_or_b32 v22, v15, 12, v26
	v_cvt_f32_f16_e32 v10, v10
	v_lshl_or_b32 v17, v17, 9, 0x7c00
	s_wait_alu 0xf1ff
	s_delay_alu instid0(VALU_DEP_3)
	v_cndmask_b32_e64 v6, v22, v6, s0
	v_cmp_ne_u32_e64 s0, 0, v8
	v_lshrrev_b32_e32 v22, 8, v9
	v_cvt_f64_f32_e32 v[10:11], v10
	v_lshrrev_b32_e32 v9, 16, v9
	v_and_b32_e32 v28, 7, v6
	s_wait_alu 0xf1ff
	v_cndmask_b32_e64 v8, 0, 1, s0
	v_cmp_gt_i32_e64 s0, 31, v19
	s_delay_alu instid0(VALU_DEP_3) | instskip(NEXT) | instid1(VALU_DEP_3)
	v_cmp_eq_u32_e64 s1, 3, v28
	v_and_or_b32 v8, 0xffe, v22, v8
	s_wait_alu 0xf1ff
	s_delay_alu instid0(VALU_DEP_3) | instskip(SKIP_4) | instid1(VALU_DEP_4)
	v_cndmask_b32_e64 v18, 0x7c00, v18, s0
	v_sub_nc_u32_e32 v22, 0x3f1, v27
	v_cmp_eq_u32_e64 s0, 0x40f, v19
	v_and_or_b32 v3, 0x1ff, v4, v3
	v_add_nc_u32_e32 v27, 0xfffffc10, v27
	v_med3_i32 v19, v22, 0, 13
	s_wait_alu 0xf1ff
	v_cndmask_b32_e64 v17, v18, v17, s0
	v_or_b32_e32 v18, 0x1000, v8
	v_cmp_lt_i32_e64 s0, 5, v28
	v_lshrrev_b32_e32 v22, 16, v5
	v_lshrrev_b32_e32 v5, 2, v6
	v_mul_f16_e32 v6, v64, v13
	v_lshrrev_b32_e32 v28, v19, v18
	s_or_b32 s0, s1, s0
	v_and_or_b32 v16, 0x8000, v22, v17
	s_wait_alu 0xfffe
	v_add_co_ci_u32_e64 v13, s0, 0, v5, s0
	v_lshlrev_b32_e32 v5, v19, v28
	v_cmp_ne_u32_e64 s0, 0, v3
	v_fma_f16 v6, v63, v12, -v6
	v_lshrrev_b32_e32 v12, 8, v4
	v_bfe_u32 v19, v4, 20, 11
	s_wait_alu 0xf1ff
	v_cndmask_b32_e64 v3, 0, 1, s0
	v_cmp_ne_u32_e64 s0, v5, v18
	v_cvt_f32_f16_e32 v29, v6
	s_delay_alu instid0(VALU_DEP_3) | instskip(SKIP_1) | instid1(VALU_DEP_3)
	v_and_or_b32 v3, 0xffe, v12, v3
	s_wait_alu 0xf1ff
	v_cndmask_b32_e64 v18, 0, 1, s0
	v_cmp_ne_u32_e64 s0, 0, v26
	v_sub_nc_u32_e32 v12, 0x3f1, v19
	v_mul_f64_e32 v[5:6], s[8:9], v[10:11]
	v_cvt_f64_f32_e32 v[10:11], v29
	v_or_b32_e32 v18, v28, v18
	s_wait_alu 0xf1ff
	v_cndmask_b32_e64 v26, 0, 1, s0
	v_cmp_gt_i32_e64 s0, 31, v15
	v_lshl_or_b32 v28, v27, 12, v8
	v_or_b32_e32 v29, 0x1000, v3
	v_med3_i32 v12, v12, 0, 13
	v_lshl_or_b32 v26, v26, 9, 0x7c00
	s_wait_alu 0xf1ff
	v_cndmask_b32_e64 v13, 0x7c00, v13, s0
	v_cmp_gt_i32_e64 s0, 1, v27
	s_wait_alu 0xf1ff
	s_delay_alu instid0(VALU_DEP_1) | instskip(SKIP_2) | instid1(VALU_DEP_3)
	v_cndmask_b32_e64 v18, v28, v18, s0
	v_lshrrev_b32_e32 v28, v12, v29
	v_cmp_eq_u32_e64 s0, 0x40f, v15
	v_and_b32_e32 v15, 7, v18
	s_delay_alu instid0(VALU_DEP_3) | instskip(SKIP_1) | instid1(VALU_DEP_3)
	v_lshlrev_b32_e32 v12, v12, v28
	s_wait_alu 0xf1ff
	v_cndmask_b32_e64 v13, v13, v26, s0
	s_delay_alu instid0(VALU_DEP_3) | instskip(NEXT) | instid1(VALU_DEP_3)
	v_cmp_lt_i32_e64 s0, 5, v15
	v_cmp_ne_u32_e64 s1, v12, v29
	s_delay_alu instid0(VALU_DEP_3)
	v_and_or_b32 v17, 0x8000, v7, v13
	v_lshrrev_b32_e32 v13, 2, v18
	v_add_nc_u32_e32 v12, 0xfffffc10, v19
	v_lshrrev_b32_e32 v19, 16, v14
	s_wait_alu 0xf1ff
	v_cndmask_b32_e64 v7, 0, 1, s1
	v_cmp_eq_u32_e64 s1, 3, v15
	v_and_b32_e32 v15, 0xffff, v16
	v_lshl_or_b32 v16, v12, 12, v3
	s_delay_alu instid0(VALU_DEP_4) | instskip(NEXT) | instid1(VALU_DEP_4)
	v_or_b32_e32 v7, v28, v7
	s_or_b32 s0, s1, s0
	v_and_or_b32 v5, 0x1ff, v6, v5
	s_wait_alu 0xfffe
	v_add_co_ci_u32_e64 v13, s0, 0, v13, s0
	v_cmp_ne_u32_e64 s0, 0, v8
	v_lshrrev_b32_e32 v22, 8, v6
	v_bfe_u32 v26, v6, 20, 11
	v_lshrrev_b32_e32 v6, 16, v6
	s_wait_alu 0xf1ff
	v_cndmask_b32_e64 v18, 0, 1, s0
	v_cmp_gt_i32_e64 s0, 1, v12
	s_wait_alu 0xf1ff
	s_delay_alu instid0(VALU_DEP_1) | instskip(SKIP_4) | instid1(VALU_DEP_3)
	v_cndmask_b32_e64 v16, v16, v7, s0
	v_cmp_gt_i32_e64 s0, 31, v27
	v_mul_f64_e32 v[7:8], s[8:9], v[10:11]
	v_mul_f16_e32 v11, v62, v19
	s_wait_alu 0xf1ff
	v_cndmask_b32_e64 v10, 0x7c00, v13, s0
	v_cmp_ne_u32_e64 s0, 0, v5
	v_lshl_or_b32 v13, v18, 9, 0x7c00
	v_and_b32_e32 v18, 7, v16
	v_fmac_f16_e32 v11, v61, v14
	v_lshrrev_b32_e32 v16, 2, v16
	s_wait_alu 0xf1ff
	v_cndmask_b32_e64 v5, 0, 1, s0
	v_cmp_eq_u32_e64 s0, 0x40f, v27
	v_cmp_eq_u32_e64 s1, 3, v18
	s_delay_alu instid0(VALU_DEP_3) | instskip(SKIP_1) | instid1(VALU_DEP_3)
	v_and_or_b32 v5, 0xffe, v22, v5
	s_wait_alu 0xf1ff
	v_cndmask_b32_e64 v13, v10, v13, s0
	v_cvt_f32_f16_e32 v10, v11
	v_cmp_lt_i32_e64 s0, 5, v18
	v_sub_nc_u32_e32 v22, 0x3f1, v26
	v_or_b32_e32 v18, 0x1000, v5
	v_and_or_b32 v28, 0x8000, v9, v13
	v_cvt_f64_f32_e32 v[10:11], v10
	s_or_b32 s0, s1, s0
	v_med3_i32 v22, v22, 0, 13
	s_wait_alu 0xfffe
	v_add_co_ci_u32_e64 v16, s0, 0, v16, s0
	v_cmp_ne_u32_e64 s0, 0, v3
	v_mul_f16_e32 v9, v62, v14
	v_lshrrev_b32_e32 v27, v22, v18
	s_wait_alu 0xf1ff
	s_delay_alu instid0(VALU_DEP_3) | instskip(SKIP_1) | instid1(VALU_DEP_3)
	v_cndmask_b32_e64 v3, 0, 1, s0
	v_cmp_gt_i32_e64 s0, 31, v12
	v_lshlrev_b32_e32 v13, v22, v27
	s_delay_alu instid0(VALU_DEP_3) | instskip(SKIP_1) | instid1(VALU_DEP_3)
	v_lshl_or_b32 v3, v3, 9, 0x7c00
	s_wait_alu 0xf1ff
	v_cndmask_b32_e64 v16, 0x7c00, v16, s0
	v_cmp_eq_u32_e64 s0, 0x40f, v12
	v_lshrrev_b32_e32 v12, 8, v8
	s_wait_alu 0xf1ff
	s_delay_alu instid0(VALU_DEP_2)
	v_cndmask_b32_e64 v14, v16, v3, s0
	v_fma_f16 v3, v61, v19, -v9
	v_lshrrev_b32_e32 v16, 16, v4
	v_and_or_b32 v4, 0x1ff, v8, v7
	v_cmp_ne_u32_e64 s0, v13, v18
	v_add_nc_u32_e32 v18, 0xfffffc10, v26
	v_cvt_f32_f16_e32 v3, v3
	v_bfe_u32 v19, v8, 20, 11
	v_and_or_b32 v14, 0x8000, v16, v14
	s_wait_alu 0xf1ff
	v_cndmask_b32_e64 v7, 0, 1, s0
	v_cmp_ne_u32_e64 s0, 0, v4
	v_cvt_f64_f32_e32 v[3:4], v3
	v_lshl_or_b32 v22, v18, 12, v5
	s_delay_alu instid0(VALU_DEP_4)
	v_or_b32_e32 v7, v27, v7
	s_wait_alu 0xf1ff
	v_cndmask_b32_e64 v9, 0, 1, s0
	v_sub_nc_u32_e32 v27, 0x3f1, v19
	v_cmp_gt_i32_e64 s0, 1, v18
	v_add_nc_u32_e32 v19, 0xfffffc10, v19
	s_delay_alu instid0(VALU_DEP_4)
	v_and_or_b32 v26, 0xffe, v12, v9
	ds_load_2addr_b32 v[12:13], v23 offset0:88 offset1:163
	v_mul_f64_e32 v[9:10], s[8:9], v[10:11]
	s_wait_alu 0xf1ff
	v_cndmask_b32_e64 v7, v22, v7, s0
	v_med3_i32 v22, v27, 0, 13
	v_or_b32_e32 v11, 0x1000, v26
	v_lshl_or_b32 v27, v17, 16, v15
	v_and_b32_e32 v15, 0xffff, v28
	v_and_b32_e32 v16, 7, v7
	v_add_co_u32 v0, s0, v0, s6
	v_lshrrev_b32_e32 v17, v22, v11
	s_delay_alu instid0(VALU_DEP_4)
	v_lshl_or_b32 v28, v14, 16, v15
	s_wait_alu 0xf1ff
	v_add_co_ci_u32_e64 v1, s0, s7, v1, s0
	v_cmp_lt_i32_e64 s0, 5, v16
	v_lshlrev_b32_e32 v14, v22, v17
	v_cmp_eq_u32_e64 s1, 3, v16
	v_lshrrev_b32_e32 v7, 2, v7
	v_lshl_or_b32 v15, v19, 12, v26
	s_wait_dscnt 0x0
	v_lshrrev_b32_e32 v22, 16, v12
	v_cmp_ne_u32_e64 s2, v14, v11
	s_or_b32 s0, s1, s0
	s_wait_alu 0xfffe
	v_add_co_ci_u32_e64 v7, s0, 0, v7, s0
	v_mul_f16_e32 v14, v60, v22
	v_cndmask_b32_e64 v11, 0, 1, s2
	v_cmp_ne_u32_e64 s0, 0, v5
	v_mul_f64_e32 v[3:4], s[8:9], v[3:4]
	s_delay_alu instid0(VALU_DEP_4) | instskip(NEXT) | instid1(VALU_DEP_4)
	v_fmac_f16_e32 v14, v59, v12
	v_or_b32_e32 v11, v17, v11
	s_wait_alu 0xf1ff
	v_cndmask_b32_e64 v5, 0, 1, s0
	v_cmp_gt_i32_e64 s0, 1, v19
	v_cvt_f32_f16_e32 v14, v14
	s_delay_alu instid0(VALU_DEP_3) | instskip(SKIP_1) | instid1(VALU_DEP_3)
	v_lshl_or_b32 v5, v5, 9, 0x7c00
	s_wait_alu 0xf1ff
	v_cndmask_b32_e64 v11, v15, v11, s0
	v_cmp_gt_i32_e64 s0, 31, v18
	v_and_or_b32 v9, 0x1ff, v10, v9
	v_cvt_f64_f32_e32 v[14:15], v14
	s_delay_alu instid0(VALU_DEP_4)
	v_and_b32_e32 v29, 7, v11
	s_wait_alu 0xf1ff
	v_cndmask_b32_e64 v7, 0x7c00, v7, s0
	v_add_co_u32 v16, s0, v0, s6
	s_wait_alu 0xf1ff
	v_add_co_ci_u32_e64 v17, s0, s7, v1, s0
	v_cmp_eq_u32_e64 s0, 0x40f, v18
	v_cmp_ne_u32_e64 s1, 0, v9
	v_lshrrev_b32_e32 v11, 2, v11
	v_lshrrev_b32_e32 v9, 8, v10
	v_bfe_u32 v18, v10, 20, 11
	s_wait_alu 0xf1ff
	v_cndmask_b32_e64 v5, v7, v5, s0
	v_cmp_lt_i32_e64 s0, 5, v29
	v_cndmask_b32_e64 v7, 0, 1, s1
	v_cmp_eq_u32_e64 s1, 3, v29
	global_store_b32 v[0:1], v27, off
	global_store_b32 v[16:17], v28, off
	v_and_or_b32 v30, 0x8000, v6, v5
	v_lshrrev_b32_e32 v10, 16, v10
	v_and_or_b32 v9, 0xffe, v9, v7
	s_or_b32 s0, s1, s0
	v_sub_nc_u32_e32 v7, 0x3f1, v18
	s_wait_alu 0xfffe
	v_add_co_ci_u32_e64 v11, s0, 0, v11, s0
	v_cmp_ne_u32_e64 s0, 0, v26
	v_or_b32_e32 v29, 0x1000, v9
	v_med3_i32 v7, v7, 0, 13
	v_and_or_b32 v3, 0x1ff, v4, v3
	s_wait_alu 0xf1ff
	v_cndmask_b32_e64 v26, 0, 1, s0
	v_cmp_gt_i32_e64 s0, 31, v19
	v_lshrrev_b32_e32 v31, v7, v29
	s_delay_alu instid0(VALU_DEP_3) | instskip(SKIP_1) | instid1(VALU_DEP_3)
	v_lshl_or_b32 v26, v26, 9, 0x7c00
	s_wait_alu 0xf1ff
	v_cndmask_b32_e64 v11, 0x7c00, v11, s0
	v_cmp_eq_u32_e64 s0, 0x40f, v19
	v_lshlrev_b32_e32 v7, v7, v31
	v_lshrrev_b32_e32 v19, 16, v8
	v_mul_f16_e32 v8, v60, v12
	v_lshrrev_b32_e32 v12, 8, v4
	s_wait_alu 0xf1ff
	v_cndmask_b32_e64 v11, v11, v26, s0
	v_cmp_ne_u32_e64 s0, 0, v3
	v_bfe_u32 v26, v4, 20, 11
	v_mul_f64_e32 v[5:6], s[8:9], v[14:15]
	v_fma_f16 v8, v59, v22, -v8
	v_add_nc_u32_e32 v14, 0xfffffc10, v18
	s_wait_alu 0xf1ff
	v_cndmask_b32_e64 v3, 0, 1, s0
	v_cmp_ne_u32_e64 s0, v7, v29
	v_and_or_b32 v11, 0x8000, v19, v11
	v_cvt_f32_f16_e32 v8, v8
	v_lshl_or_b32 v18, v14, 12, v9
	v_and_or_b32 v3, 0xffe, v12, v3
	s_wait_alu 0xf1ff
	v_cndmask_b32_e64 v7, 0, 1, s0
	v_sub_nc_u32_e32 v12, 0x3f1, v26
	v_cmp_gt_i32_e64 s0, 1, v14
	v_and_b32_e32 v19, 0xffff, v30
	v_or_b32_e32 v22, 0x1000, v3
	v_or_b32_e32 v15, v31, v7
	v_med3_i32 v12, v12, 0, 13
	v_cvt_f64_f32_e32 v[7:8], v8
	v_lshl_or_b32 v19, v11, 16, v19
	v_cmp_eq_u32_e64 s2, 0x40f, v14
	s_wait_alu 0xf1ff
	v_cndmask_b32_e64 v15, v18, v15, s0
	v_lshrrev_b32_e32 v18, v12, v22
	v_add_co_u32 v11, s0, v16, s6
	v_lshrrev_b32_e32 v16, 16, v13
	s_delay_alu instid0(VALU_DEP_4) | instskip(NEXT) | instid1(VALU_DEP_4)
	v_and_b32_e32 v0, 7, v15
	v_lshlrev_b32_e32 v1, v12, v18
	s_wait_alu 0xf1ff
	v_add_co_ci_u32_e64 v12, s0, s7, v17, s0
	v_add_nc_u32_e32 v17, 0xfffffc10, v26
	v_cmp_lt_i32_e64 s0, 5, v0
	v_cmp_ne_u32_e64 s1, v1, v22
	v_mul_f16_e32 v22, v58, v16
	v_lshrrev_b32_e32 v4, 16, v4
	s_wait_alu 0xf1ff
	s_delay_alu instid0(VALU_DEP_3)
	v_cndmask_b32_e64 v1, 0, 1, s1
	v_cmp_eq_u32_e64 s1, 3, v0
	v_lshrrev_b32_e32 v0, 2, v15
	v_lshl_or_b32 v15, v17, 12, v3
	v_and_or_b32 v5, 0x1ff, v6, v5
	v_or_b32_e32 v1, v18, v1
	s_or_b32 s0, s1, s0
	v_fmac_f16_e32 v22, v56, v13
	s_wait_alu 0xfffe
	v_add_co_ci_u32_e64 v18, s0, 0, v0, s0
	v_cmp_gt_i32_e64 s0, 1, v17
	v_bfe_u32 v26, v6, 20, 11
	v_cvt_f32_f16_e32 v0, v22
	v_lshrrev_b32_e32 v22, 8, v6
	v_mul_f16_e32 v13, v58, v13
	s_wait_alu 0xf1ff
	v_cndmask_b32_e64 v15, v15, v1, s0
	v_cmp_ne_u32_e64 s0, 0, v5
	v_cvt_f64_f32_e32 v[0:1], v0
	v_mul_f64_e32 v[7:8], s[8:9], v[7:8]
	s_delay_alu instid0(VALU_DEP_4)
	v_and_b32_e32 v27, 7, v15
	s_wait_alu 0xf1ff
	v_cndmask_b32_e64 v5, 0, 1, s0
	v_cmp_ne_u32_e64 s0, 0, v9
	v_lshrrev_b32_e32 v15, 2, v15
	v_fma_f16 v13, v56, v16, -v13
	v_cmp_eq_u32_e64 s1, 3, v27
	v_and_or_b32 v5, 0xffe, v22, v5
	s_wait_alu 0xf1ff
	v_cndmask_b32_e64 v9, 0, 1, s0
	v_cmp_gt_i32_e64 s0, 31, v14
	v_sub_nc_u32_e32 v22, 0x3f1, v26
	v_cvt_f32_f16_e32 v13, v13
	v_or_b32_e32 v28, 0x1000, v5
	v_lshl_or_b32 v9, v9, 9, 0x7c00
	s_wait_alu 0xf1ff
	v_cndmask_b32_e64 v18, 0x7c00, v18, s0
	v_cmp_lt_i32_e64 s0, 5, v27
	v_med3_i32 v22, v22, 0, 13
	s_delay_alu instid0(VALU_DEP_3) | instskip(NEXT) | instid1(VALU_DEP_3)
	v_cndmask_b32_e64 v9, v18, v9, s2
	s_or_b32 s0, s1, s0
	s_delay_alu instid0(VALU_DEP_2)
	v_lshrrev_b32_e32 v14, v22, v28
	s_wait_alu 0xfffe
	v_add_co_ci_u32_e64 v15, s0, 0, v15, s0
	v_cmp_ne_u32_e64 s0, 0, v3
	v_and_or_b32 v9, 0x8000, v10, v9
	v_lshlrev_b32_e32 v18, v22, v14
	s_wait_alu 0xf1ff
	s_delay_alu instid0(VALU_DEP_3) | instskip(SKIP_2) | instid1(VALU_DEP_3)
	v_cndmask_b32_e64 v3, 0, 1, s0
	v_cmp_gt_i32_e64 s0, 31, v17
	v_and_b32_e32 v9, 0xffff, v9
	v_lshl_or_b32 v3, v3, 9, 0x7c00
	s_wait_alu 0xf1ff
	s_delay_alu instid0(VALU_DEP_3)
	v_cndmask_b32_e64 v15, 0x7c00, v15, s0
	v_cmp_ne_u32_e64 s0, v18, v28
	v_mul_f64_e32 v[0:1], s[8:9], v[0:1]
	v_and_or_b32 v7, 0x1ff, v8, v7
	v_bfe_u32 v16, v8, 20, 11
	s_wait_alu 0xf1ff
	v_cndmask_b32_e64 v10, 0, 1, s0
	v_cmp_eq_u32_e64 s0, 0x40f, v17
	ds_load_b32 v17, v54 offset:3000
	v_or_b32_e32 v10, v14, v10
	s_wait_alu 0xf1ff
	v_cndmask_b32_e64 v3, v15, v3, s0
	v_add_nc_u32_e32 v15, 0xfffffc10, v26
	s_delay_alu instid0(VALU_DEP_2) | instskip(NEXT) | instid1(VALU_DEP_2)
	v_and_or_b32 v18, 0x8000, v4, v3
	v_lshl_or_b32 v14, v15, 12, v5
	v_cmp_gt_i32_e64 s0, 1, v15
	v_cvt_f64_f32_e32 v[3:4], v13
	v_sub_nc_u32_e32 v13, 0x3f1, v16
	v_lshl_or_b32 v18, v18, 16, v9
	v_add_nc_u32_e32 v16, 0xfffffc10, v16
	s_wait_alu 0xf1ff
	v_cndmask_b32_e64 v10, v14, v10, s0
	v_cmp_ne_u32_e64 s0, 0, v7
	v_lshrrev_b32_e32 v14, 8, v8
	v_med3_i32 v13, v13, 0, 13
	s_delay_alu instid0(VALU_DEP_4) | instskip(SKIP_3) | instid1(VALU_DEP_3)
	v_and_b32_e32 v22, 7, v10
	s_wait_alu 0xf1ff
	v_cndmask_b32_e64 v7, 0, 1, s0
	v_lshrrev_b32_e32 v9, 2, v10
	v_cmp_lt_i32_e64 s0, 5, v22
	s_delay_alu instid0(VALU_DEP_3) | instskip(SKIP_3) | instid1(VALU_DEP_3)
	v_and_or_b32 v7, 0xffe, v14, v7
	s_wait_dscnt 0x0
	v_lshrrev_b32_e32 v14, 16, v17
	v_cmp_eq_u32_e64 s1, 3, v22
	v_or_b32_e32 v26, 0x1000, v7
	s_delay_alu instid0(VALU_DEP_3) | instskip(NEXT) | instid1(VALU_DEP_3)
	v_mul_f16_e32 v27, v57, v14
	s_or_b32 s0, s1, s0
	v_and_or_b32 v0, 0x1ff, v1, v0
	s_wait_alu 0xfffe
	v_add_co_ci_u32_e64 v9, s0, 0, v9, s0
	v_lshrrev_b32_e32 v22, v13, v26
	v_fmac_f16_e32 v27, v55, v17
	v_cmp_ne_u32_e64 s0, 0, v5
	v_mul_f16_e32 v17, v57, v17
	s_delay_alu instid0(VALU_DEP_4) | instskip(NEXT) | instid1(VALU_DEP_4)
	v_lshlrev_b32_e32 v13, v13, v22
	v_cvt_f32_f16_e32 v10, v27
	s_wait_alu 0xf1ff
	v_cndmask_b32_e64 v5, 0, 1, s0
	v_cmp_gt_i32_e64 s0, 31, v15
	v_fma_f16 v14, v55, v14, -v17
	v_lshl_or_b32 v17, v16, 12, v7
	v_mul_f64_e32 v[3:4], s[8:9], v[3:4]
	s_wait_alu 0xf1ff
	v_cndmask_b32_e64 v27, 0x7c00, v9, s0
	v_cvt_f64_f32_e32 v[9:10], v10
	v_cmp_ne_u32_e64 s0, v13, v26
	v_lshrrev_b32_e32 v26, 8, v1
	v_cvt_f32_f16_e32 v14, v14
	v_lshl_or_b32 v5, v5, 9, 0x7c00
	s_wait_alu 0xf1ff
	v_cndmask_b32_e64 v13, 0, 1, s0
	v_cmp_ne_u32_e64 s0, 0, v0
	s_delay_alu instid0(VALU_DEP_2) | instskip(SKIP_1) | instid1(VALU_DEP_2)
	v_or_b32_e32 v13, v22, v13
	s_wait_alu 0xf1ff
	v_cndmask_b32_e64 v0, 0, 1, s0
	v_bfe_u32 v22, v1, 20, 11
	v_cmp_gt_i32_e64 s0, 1, v16
	v_lshrrev_b32_e32 v1, 16, v1
	s_delay_alu instid0(VALU_DEP_4) | instskip(NEXT) | instid1(VALU_DEP_4)
	v_and_or_b32 v0, 0xffe, v26, v0
	v_sub_nc_u32_e32 v26, 0x3f1, v22
	s_wait_alu 0xf1ff
	v_cndmask_b32_e64 v17, v17, v13, s0
	v_cmp_eq_u32_e64 s0, 0x40f, v15
	v_cvt_f64_f32_e32 v[13:14], v14
	v_or_b32_e32 v28, 0x1000, v0
	v_med3_i32 v26, v26, 0, 13
	v_and_b32_e32 v29, 7, v17
	s_wait_alu 0xf1ff
	v_cndmask_b32_e64 v15, v27, v5, s0
	v_add_co_u32 v5, s0, v11, s6
	v_lshrrev_b32_e32 v30, v26, v28
	v_lshrrev_b32_e32 v27, 16, v6
	s_wait_alu 0xf1ff
	v_add_co_ci_u32_e64 v6, s0, s7, v12, s0
	v_cmp_lt_i32_e64 s0, 5, v29
	v_cmp_eq_u32_e64 s1, 3, v29
	v_lshrrev_b32_e32 v17, 2, v17
	v_lshlrev_b32_e32 v26, v26, v30
	v_add_nc_u32_e32 v22, 0xfffffc10, v22
	v_and_or_b32 v15, 0x8000, v27, v15
	s_or_b32 s0, s1, s0
	v_mul_f64_e32 v[9:10], s[8:9], v[9:10]
	s_wait_alu 0xfffe
	v_add_co_ci_u32_e64 v17, s0, 0, v17, s0
	v_cmp_ne_u32_e64 s2, v26, v28
	v_cmp_ne_u32_e64 s0, 0, v7
	v_lshl_or_b32 v27, v22, 12, v0
	v_and_or_b32 v3, 0x1ff, v4, v3
	v_and_b32_e32 v15, 0xffff, v15
	s_wait_alu 0xf1ff
	v_cndmask_b32_e64 v26, 0, 1, s2
	v_cndmask_b32_e64 v7, 0, 1, s0
	v_cmp_gt_i32_e64 s0, 31, v16
	v_lshrrev_b32_e32 v28, 8, v4
	s_delay_alu instid0(VALU_DEP_4) | instskip(NEXT) | instid1(VALU_DEP_4)
	v_or_b32_e32 v26, v30, v26
	v_lshl_or_b32 v7, v7, 9, 0x7c00
	s_wait_alu 0xf1ff
	v_cndmask_b32_e64 v17, 0x7c00, v17, s0
	v_cmp_gt_i32_e64 s0, 1, v22
	s_wait_alu 0xf1ff
	s_delay_alu instid0(VALU_DEP_1) | instskip(SKIP_1) | instid1(VALU_DEP_2)
	v_cndmask_b32_e64 v26, v27, v26, s0
	v_cmp_eq_u32_e64 s0, 0x40f, v16
	v_and_b32_e32 v27, 7, v26
	s_wait_alu 0xf1ff
	s_delay_alu instid0(VALU_DEP_2)
	v_cndmask_b32_e64 v16, v17, v7, s0
	v_lshrrev_b32_e32 v17, 16, v8
	v_cmp_ne_u32_e64 s0, 0, v3
	v_mul_f64_e32 v[7:8], s[8:9], v[13:14]
	v_bfe_u32 v13, v4, 20, 11
	v_cmp_eq_u32_e64 s1, 3, v27
	v_and_or_b32 v14, 0x8000, v17, v16
	s_wait_alu 0xf1ff
	v_cndmask_b32_e64 v3, 0, 1, s0
	v_cmp_lt_i32_e64 s0, 5, v27
	v_sub_nc_u32_e32 v16, 0x3f1, v13
	v_add_nc_u32_e32 v13, 0xfffffc10, v13
	v_lshl_or_b32 v14, v14, 16, v15
	v_lshrrev_b32_e32 v15, 2, v26
	v_and_or_b32 v3, 0xffe, v28, v3
	s_or_b32 s0, s1, s0
	v_med3_i32 v16, v16, 0, 13
	v_and_or_b32 v9, 0x1ff, v10, v9
	s_wait_alu 0xfffe
	v_add_co_ci_u32_e64 v15, s0, 0, v15, s0
	v_or_b32_e32 v17, 0x1000, v3
	v_cmp_ne_u32_e64 s0, 0, v0
	v_lshrrev_b32_e32 v27, 8, v10
	v_bfe_u32 v28, v10, 20, 11
	v_lshrrev_b32_e32 v4, 16, v4
	v_lshrrev_b32_e32 v26, v16, v17
	s_wait_alu 0xf1ff
	v_cndmask_b32_e64 v0, 0, 1, s0
	v_cmp_gt_i32_e64 s0, 31, v22
	v_lshrrev_b32_e32 v10, 16, v10
	v_lshlrev_b32_e32 v16, v16, v26
	s_delay_alu instid0(VALU_DEP_4) | instskip(SKIP_4) | instid1(VALU_DEP_1)
	v_lshl_or_b32 v0, v0, 9, 0x7c00
	s_wait_alu 0xf1ff
	v_cndmask_b32_e64 v15, 0x7c00, v15, s0
	v_cmp_ne_u32_e64 s0, 0, v9
	s_wait_alu 0xf1ff
	v_cndmask_b32_e64 v9, 0, 1, s0
	v_cmp_ne_u32_e64 s0, v16, v17
	v_sub_nc_u32_e32 v17, 0x3f1, v28
	v_and_or_b32 v7, 0x1ff, v8, v7
	s_delay_alu instid0(VALU_DEP_4)
	v_and_or_b32 v9, 0xffe, v27, v9
	s_wait_alu 0xf1ff
	v_cndmask_b32_e64 v16, 0, 1, s0
	v_cmp_eq_u32_e64 s0, 0x40f, v22
	v_med3_i32 v17, v17, 0, 13
	v_bfe_u32 v27, v8, 20, 11
	v_or_b32_e32 v22, 0x1000, v9
	s_wait_alu 0xf1ff
	v_cndmask_b32_e64 v0, v15, v0, s0
	v_or_b32_e32 v15, v26, v16
	v_lshl_or_b32 v16, v13, 12, v3
	v_cmp_gt_i32_e64 s0, 1, v13
	v_lshrrev_b32_e32 v26, 8, v8
	v_and_or_b32 v0, 0x8000, v1, v0
	s_wait_alu 0xf1ff
	s_delay_alu instid0(VALU_DEP_3) | instskip(SKIP_3) | instid1(VALU_DEP_4)
	v_cndmask_b32_e64 v15, v16, v15, s0
	v_lshrrev_b32_e32 v16, v17, v22
	v_cmp_ne_u32_e64 s0, 0, v7
	v_and_b32_e32 v0, 0xffff, v0
	v_and_b32_e32 v29, 7, v15
	s_delay_alu instid0(VALU_DEP_4)
	v_lshlrev_b32_e32 v17, v17, v16
	s_wait_alu 0xf1ff
	v_cndmask_b32_e64 v7, 0, 1, s0
	v_lshrrev_b32_e32 v15, 2, v15
	v_cmp_lt_i32_e64 s0, 5, v29
	v_cmp_ne_u32_e64 s1, v17, v22
	s_delay_alu instid0(VALU_DEP_4)
	v_and_or_b32 v1, 0xffe, v26, v7
	v_sub_nc_u32_e32 v7, 0x3f1, v27
	v_add_nc_u32_e32 v26, 0xfffffc10, v28
	s_wait_alu 0xf1ff
	v_cndmask_b32_e64 v17, 0, 1, s1
	v_cmp_eq_u32_e64 s1, 3, v29
	v_or_b32_e32 v22, 0x1000, v1
	v_med3_i32 v7, v7, 0, 13
	v_lshl_or_b32 v28, v26, 12, v9
	v_or_b32_e32 v16, v16, v17
	s_or_b32 s0, s1, s0
	s_wait_alu 0xfffe
	v_add_co_ci_u32_e64 v15, s0, 0, v15, s0
	v_lshrrev_b32_e32 v17, v7, v22
	v_cmp_gt_i32_e64 s0, 1, v26
	s_delay_alu instid0(VALU_DEP_2) | instskip(SKIP_1) | instid1(VALU_DEP_2)
	v_lshlrev_b32_e32 v7, v7, v17
	s_wait_alu 0xf1ff
	v_cndmask_b32_e64 v16, v28, v16, s0
	v_cmp_ne_u32_e64 s0, 0, v3
	s_wait_alu 0xf1ff
	s_delay_alu instid0(VALU_DEP_1) | instskip(SKIP_3) | instid1(VALU_DEP_4)
	v_cndmask_b32_e64 v3, 0, 1, s0
	v_cmp_ne_u32_e64 s0, v7, v22
	v_add_nc_u32_e32 v22, 0xfffffc10, v27
	v_and_b32_e32 v27, 7, v16
	v_lshl_or_b32 v3, v3, 9, 0x7c00
	s_wait_alu 0xf1ff
	v_cndmask_b32_e64 v7, 0, 1, s0
	v_cmp_gt_i32_e64 s0, 31, v13
	v_cmp_gt_i32_e64 s2, 1, v22
	v_cmp_eq_u32_e64 s1, 3, v27
	s_delay_alu instid0(VALU_DEP_4) | instskip(SKIP_4) | instid1(VALU_DEP_3)
	v_or_b32_e32 v7, v17, v7
	v_lshl_or_b32 v17, v22, 12, v1
	s_wait_alu 0xf1ff
	v_cndmask_b32_e64 v15, 0x7c00, v15, s0
	v_cmp_lt_i32_e64 s0, 5, v27
	v_cndmask_b32_e64 v7, v17, v7, s2
	v_cmp_eq_u32_e64 s2, 0x40f, v13
	v_lshrrev_b32_e32 v13, 2, v16
	s_delay_alu instid0(VALU_DEP_4) | instskip(NEXT) | instid1(VALU_DEP_2)
	s_or_b32 s0, s1, s0
	v_cndmask_b32_e64 v3, v15, v3, s2
	s_wait_alu 0xfffe
	s_delay_alu instid0(VALU_DEP_2) | instskip(SKIP_4) | instid1(VALU_DEP_4)
	v_add_co_ci_u32_e64 v13, s0, 0, v13, s0
	v_and_b32_e32 v15, 7, v7
	v_cmp_ne_u32_e64 s0, 0, v9
	v_lshrrev_b32_e32 v7, 2, v7
	v_cmp_gt_i32_e64 s2, 31, v26
	v_cmp_eq_u32_e64 s1, 3, v15
	s_wait_alu 0xf1ff
	v_cndmask_b32_e64 v9, 0, 1, s0
	v_cmp_lt_i32_e64 s0, 5, v15
	v_cndmask_b32_e64 v13, 0x7c00, v13, s2
	s_delay_alu instid0(VALU_DEP_3) | instskip(NEXT) | instid1(VALU_DEP_3)
	v_lshl_or_b32 v9, v9, 9, 0x7c00
	s_or_b32 s0, s1, s0
	s_wait_alu 0xfffe
	v_add_co_ci_u32_e64 v7, s0, 0, v7, s0
	v_cmp_ne_u32_e64 s0, 0, v1
	s_wait_alu 0xf1ff
	s_delay_alu instid0(VALU_DEP_1) | instskip(SKIP_1) | instid1(VALU_DEP_2)
	v_cndmask_b32_e64 v1, 0, 1, s0
	v_cmp_eq_u32_e64 s0, 0x40f, v26
	v_lshl_or_b32 v1, v1, 9, 0x7c00
	s_wait_alu 0xf1ff
	s_delay_alu instid0(VALU_DEP_2) | instskip(SKIP_2) | instid1(VALU_DEP_3)
	v_cndmask_b32_e64 v9, v13, v9, s0
	v_cmp_gt_i32_e64 s0, 31, v22
	v_and_or_b32 v13, 0x8000, v4, v3
	v_and_or_b32 v9, 0x8000, v10, v9
	s_wait_alu 0xf1ff
	s_delay_alu instid0(VALU_DEP_3) | instskip(SKIP_3) | instid1(VALU_DEP_2)
	v_cndmask_b32_e64 v7, 0x7c00, v7, s0
	v_cmp_eq_u32_e64 s0, 0x40f, v22
	v_lshl_or_b32 v10, v13, 16, v0
	s_wait_alu 0xf1ff
	v_cndmask_b32_e64 v1, v7, v1, s0
	v_lshrrev_b32_e32 v7, 16, v8
	v_add_co_u32 v3, s0, v5, s6
	s_wait_alu 0xf1ff
	v_add_co_ci_u32_e64 v4, s0, s7, v6, s0
	s_delay_alu instid0(VALU_DEP_3) | instskip(SKIP_4) | instid1(VALU_DEP_3)
	v_and_or_b32 v0, 0x8000, v7, v1
	v_and_b32_e32 v1, 0xffff, v9
	v_add_co_u32 v7, s0, v3, s6
	s_wait_alu 0xf1ff
	v_add_co_ci_u32_e64 v8, s0, s7, v4, s0
	v_lshl_or_b32 v9, v0, 16, v1
	s_delay_alu instid0(VALU_DEP_3) | instskip(SKIP_1) | instid1(VALU_DEP_3)
	v_add_co_u32 v0, s0, v7, s6
	s_wait_alu 0xf1ff
	v_add_co_ci_u32_e64 v1, s0, s7, v8, s0
	global_store_b32 v[11:12], v19, off
	global_store_b32 v[5:6], v18, off
	;; [unrolled: 1-line block ×5, first 2 shown]
	s_and_b32 exec_lo, exec_lo, vcc_lo
	s_cbranch_execz .LBB0_15
; %bb.14:
	global_load_b32 v5, v[20:21], off offset:220
	ds_load_2addr_b32 v[3:4], v54 offset0:55 offset1:130
	v_mad_co_u64_u32 v[0:1], null, 0xfffff524, s4, v[0:1]
	s_wait_dscnt 0x0
	v_lshrrev_b32_e32 v6, 16, v3
	s_wait_loadcnt 0x0
	v_lshrrev_b32_e32 v7, 16, v5
	s_delay_alu instid0(VALU_DEP_1) | instskip(SKIP_1) | instid1(VALU_DEP_2)
	v_mul_f16_e32 v8, v6, v7
	v_mul_f16_e32 v7, v3, v7
	v_fmac_f16_e32 v8, v3, v5
	s_delay_alu instid0(VALU_DEP_2) | instskip(NEXT) | instid1(VALU_DEP_2)
	v_fma_f16 v3, v5, v6, -v7
	v_cvt_f32_f16_e32 v5, v8
	s_delay_alu instid0(VALU_DEP_2) | instskip(NEXT) | instid1(VALU_DEP_2)
	v_cvt_f32_f16_e32 v3, v3
	v_cvt_f64_f32_e32 v[5:6], v5
	s_delay_alu instid0(VALU_DEP_2) | instskip(NEXT) | instid1(VALU_DEP_2)
	v_cvt_f64_f32_e32 v[7:8], v3
	v_mul_f64_e32 v[5:6], s[8:9], v[5:6]
	s_delay_alu instid0(VALU_DEP_2) | instskip(NEXT) | instid1(VALU_DEP_2)
	v_mul_f64_e32 v[7:8], s[8:9], v[7:8]
	v_and_or_b32 v3, 0x1ff, v6, v5
	s_delay_alu instid0(VALU_DEP_2)
	v_and_or_b32 v7, 0x1ff, v8, v7
	v_lshrrev_b32_e32 v5, 8, v6
	v_bfe_u32 v9, v6, 20, 11
	v_lshrrev_b32_e32 v10, 8, v8
	v_cmp_ne_u32_e32 vcc_lo, 0, v3
	v_bfe_u32 v11, v8, 20, 11
	v_lshrrev_b32_e32 v6, 16, v6
	v_sub_nc_u32_e32 v12, 0x3f1, v9
	v_add_nc_u32_e32 v9, 0xfffffc10, v9
	s_wait_alu 0xfffd
	v_cndmask_b32_e64 v3, 0, 1, vcc_lo
	v_cmp_ne_u32_e32 vcc_lo, 0, v7
	v_lshrrev_b32_e32 v8, 16, v8
	s_delay_alu instid0(VALU_DEP_3) | instskip(SKIP_4) | instid1(VALU_DEP_3)
	v_and_or_b32 v3, 0xffe, v5, v3
	s_wait_alu 0xfffd
	v_cndmask_b32_e64 v7, 0, 1, vcc_lo
	v_sub_nc_u32_e32 v5, 0x3f1, v11
	v_add_nc_u32_e32 v11, 0xfffffc10, v11
	v_and_or_b32 v7, 0xffe, v10, v7
	v_med3_i32 v10, v12, 0, 13
	v_or_b32_e32 v12, 0x1000, v3
	v_med3_i32 v5, v5, 0, 13
	s_delay_alu instid0(VALU_DEP_4) | instskip(NEXT) | instid1(VALU_DEP_3)
	v_or_b32_e32 v13, 0x1000, v7
	v_lshrrev_b32_e32 v14, v10, v12
	s_delay_alu instid0(VALU_DEP_2) | instskip(NEXT) | instid1(VALU_DEP_2)
	v_lshrrev_b32_e32 v15, v5, v13
	v_lshlrev_b32_e32 v10, v10, v14
	s_delay_alu instid0(VALU_DEP_1) | instskip(SKIP_3) | instid1(VALU_DEP_1)
	v_cmp_ne_u32_e32 vcc_lo, v10, v12
	v_lshl_or_b32 v12, v9, 12, v3
	s_wait_alu 0xfffd
	v_cndmask_b32_e64 v10, 0, 1, vcc_lo
	v_or_b32_e32 v10, v14, v10
	v_lshlrev_b32_e32 v5, v5, v15
	s_delay_alu instid0(VALU_DEP_1) | instskip(SKIP_4) | instid1(VALU_DEP_2)
	v_cmp_ne_u32_e32 vcc_lo, v5, v13
	v_lshl_or_b32 v13, v11, 12, v7
	s_wait_alu 0xfffd
	v_cndmask_b32_e64 v5, 0, 1, vcc_lo
	v_cmp_gt_i32_e32 vcc_lo, 1, v9
	v_or_b32_e32 v5, v15, v5
	s_wait_alu 0xfffd
	v_cndmask_b32_e32 v10, v12, v10, vcc_lo
	v_cmp_gt_i32_e32 vcc_lo, 1, v11
	s_wait_alu 0xfffd
	s_delay_alu instid0(VALU_DEP_2) | instskip(SKIP_2) | instid1(VALU_DEP_3)
	v_dual_cndmask_b32 v5, v13, v5 :: v_dual_and_b32 v12, 7, v10
	v_cmp_ne_u32_e32 vcc_lo, 0, v3
	v_lshrrev_b32_e32 v10, 2, v10
	v_cmp_eq_u32_e64 s0, 3, v12
	s_wait_alu 0xfffd
	v_cndmask_b32_e64 v3, 0, 1, vcc_lo
	v_cmp_ne_u32_e32 vcc_lo, 0, v7
	s_delay_alu instid0(VALU_DEP_2) | instskip(SKIP_3) | instid1(VALU_DEP_2)
	v_lshl_or_b32 v3, v3, 9, 0x7c00
	s_wait_alu 0xfffd
	v_cndmask_b32_e64 v7, 0, 1, vcc_lo
	v_cmp_lt_i32_e32 vcc_lo, 5, v12
	v_lshl_or_b32 v7, v7, 9, 0x7c00
	s_or_b32 vcc_lo, s0, vcc_lo
	s_mul_i32 s0, s5, 0xfffff524
	s_wait_alu 0xfffe
	v_add_co_ci_u32_e32 v10, vcc_lo, 0, v10, vcc_lo
	v_and_b32_e32 v13, 7, v5
	v_lshrrev_b32_e32 v5, 2, v5
	s_sub_co_i32 s0, s0, s4
	s_wait_alu 0xfffe
	v_add_nc_u32_e32 v1, s0, v1
	v_cmp_lt_i32_e64 s1, 5, v13
	v_cmp_eq_u32_e64 s2, 3, v13
	s_delay_alu instid0(VALU_DEP_1)
	s_or_b32 vcc_lo, s2, s1
	s_wait_alu 0xfffe
	v_add_co_ci_u32_e32 v5, vcc_lo, 0, v5, vcc_lo
	v_cmp_gt_i32_e32 vcc_lo, 31, v9
	s_wait_alu 0xfffd
	v_cndmask_b32_e32 v10, 0x7c00, v10, vcc_lo
	v_cmp_gt_i32_e32 vcc_lo, 31, v11
	s_wait_alu 0xfffd
	v_cndmask_b32_e32 v5, 0x7c00, v5, vcc_lo
	v_cmp_eq_u32_e32 vcc_lo, 0x40f, v9
	s_wait_alu 0xfffd
	v_cndmask_b32_e32 v3, v10, v3, vcc_lo
	v_cmp_eq_u32_e32 vcc_lo, 0x40f, v11
	s_delay_alu instid0(VALU_DEP_2) | instskip(SKIP_2) | instid1(VALU_DEP_2)
	v_and_or_b32 v3, 0x8000, v6, v3
	s_wait_alu 0xfffd
	v_cndmask_b32_e32 v5, v5, v7, vcc_lo
	v_and_b32_e32 v3, 0xffff, v3
	s_delay_alu instid0(VALU_DEP_2) | instskip(NEXT) | instid1(VALU_DEP_1)
	v_and_or_b32 v5, 0x8000, v8, v5
	v_lshl_or_b32 v3, v5, 16, v3
	v_lshrrev_b32_e32 v5, 16, v4
	global_store_b32 v[0:1], v3, off
	global_load_b32 v3, v[20:21], off offset:520
	s_wait_loadcnt 0x0
	v_lshrrev_b32_e32 v6, 16, v3
	s_delay_alu instid0(VALU_DEP_1) | instskip(SKIP_1) | instid1(VALU_DEP_2)
	v_mul_f16_e32 v7, v5, v6
	v_mul_f16_e32 v6, v4, v6
	v_fmac_f16_e32 v7, v4, v3
	s_delay_alu instid0(VALU_DEP_2) | instskip(NEXT) | instid1(VALU_DEP_2)
	v_fma_f16 v3, v3, v5, -v6
	v_cvt_f32_f16_e32 v4, v7
	s_delay_alu instid0(VALU_DEP_2) | instskip(NEXT) | instid1(VALU_DEP_2)
	v_cvt_f32_f16_e32 v5, v3
	v_cvt_f64_f32_e32 v[3:4], v4
	s_delay_alu instid0(VALU_DEP_2) | instskip(NEXT) | instid1(VALU_DEP_2)
	v_cvt_f64_f32_e32 v[5:6], v5
	v_mul_f64_e32 v[3:4], s[8:9], v[3:4]
	s_delay_alu instid0(VALU_DEP_2) | instskip(NEXT) | instid1(VALU_DEP_2)
	v_mul_f64_e32 v[5:6], s[8:9], v[5:6]
	v_and_or_b32 v3, 0x1ff, v4, v3
	s_delay_alu instid0(VALU_DEP_2)
	v_and_or_b32 v5, 0x1ff, v6, v5
	v_lshrrev_b32_e32 v7, 8, v4
	v_bfe_u32 v8, v4, 20, 11
	v_lshrrev_b32_e32 v9, 8, v6
	v_cmp_ne_u32_e32 vcc_lo, 0, v3
	v_bfe_u32 v10, v6, 20, 11
	v_lshrrev_b32_e32 v4, 16, v4
	v_sub_nc_u32_e32 v11, 0x3f1, v8
	v_add_nc_u32_e32 v8, 0xfffffc10, v8
	s_wait_alu 0xfffd
	v_cndmask_b32_e64 v3, 0, 1, vcc_lo
	v_cmp_ne_u32_e32 vcc_lo, 0, v5
	v_lshrrev_b32_e32 v6, 16, v6
	s_delay_alu instid0(VALU_DEP_3) | instskip(SKIP_4) | instid1(VALU_DEP_3)
	v_and_or_b32 v3, 0xffe, v7, v3
	s_wait_alu 0xfffd
	v_cndmask_b32_e64 v5, 0, 1, vcc_lo
	v_sub_nc_u32_e32 v7, 0x3f1, v10
	v_add_nc_u32_e32 v10, 0xfffffc10, v10
	v_and_or_b32 v5, 0xffe, v9, v5
	v_med3_i32 v9, v11, 0, 13
	v_or_b32_e32 v11, 0x1000, v3
	v_med3_i32 v7, v7, 0, 13
	s_delay_alu instid0(VALU_DEP_4) | instskip(NEXT) | instid1(VALU_DEP_3)
	v_or_b32_e32 v12, 0x1000, v5
	v_lshrrev_b32_e32 v13, v9, v11
	s_delay_alu instid0(VALU_DEP_2) | instskip(NEXT) | instid1(VALU_DEP_2)
	v_lshrrev_b32_e32 v14, v7, v12
	v_lshlrev_b32_e32 v9, v9, v13
	s_delay_alu instid0(VALU_DEP_2) | instskip(NEXT) | instid1(VALU_DEP_2)
	v_lshlrev_b32_e32 v7, v7, v14
	v_cmp_ne_u32_e32 vcc_lo, v9, v11
	v_lshl_or_b32 v11, v8, 12, v3
	s_wait_alu 0xfffd
	v_cndmask_b32_e64 v9, 0, 1, vcc_lo
	v_cmp_ne_u32_e32 vcc_lo, v7, v12
	v_lshl_or_b32 v12, v10, 12, v5
	s_delay_alu instid0(VALU_DEP_3) | instskip(SKIP_3) | instid1(VALU_DEP_2)
	v_or_b32_e32 v9, v13, v9
	s_wait_alu 0xfffd
	v_cndmask_b32_e64 v7, 0, 1, vcc_lo
	v_cmp_gt_i32_e32 vcc_lo, 1, v8
	v_or_b32_e32 v7, v14, v7
	s_wait_alu 0xfffd
	v_cndmask_b32_e32 v9, v11, v9, vcc_lo
	v_cmp_gt_i32_e32 vcc_lo, 1, v10
	s_wait_alu 0xfffd
	v_cndmask_b32_e32 v7, v12, v7, vcc_lo
	v_cmp_ne_u32_e32 vcc_lo, 0, v3
	s_delay_alu instid0(VALU_DEP_2)
	v_and_b32_e32 v12, 7, v7
	s_wait_alu 0xfffd
	v_cndmask_b32_e64 v3, 0, 1, vcc_lo
	v_and_b32_e32 v11, 7, v9
	v_cmp_ne_u32_e32 vcc_lo, 0, v5
	v_lshrrev_b32_e32 v9, 2, v9
	v_cmp_lt_i32_e64 s1, 5, v12
	v_cmp_eq_u32_e64 s2, 3, v12
	v_cmp_eq_u32_e64 s0, 3, v11
	s_wait_alu 0xfffd
	v_cndmask_b32_e64 v5, 0, 1, vcc_lo
	v_cmp_lt_i32_e32 vcc_lo, 5, v11
	v_lshrrev_b32_e32 v7, 2, v7
	v_lshl_or_b32 v3, v3, 9, 0x7c00
	s_delay_alu instid0(VALU_DEP_4)
	v_lshl_or_b32 v5, v5, 9, 0x7c00
	s_or_b32 vcc_lo, s0, vcc_lo
	s_wait_alu 0xfffe
	v_add_co_ci_u32_e32 v9, vcc_lo, 0, v9, vcc_lo
	s_or_b32 vcc_lo, s2, s1
	s_wait_alu 0xfffe
	v_add_co_ci_u32_e32 v7, vcc_lo, 0, v7, vcc_lo
	v_cmp_gt_i32_e32 vcc_lo, 31, v8
	s_wait_alu 0xfffd
	v_cndmask_b32_e32 v9, 0x7c00, v9, vcc_lo
	v_cmp_gt_i32_e32 vcc_lo, 31, v10
	s_wait_alu 0xfffd
	v_cndmask_b32_e32 v7, 0x7c00, v7, vcc_lo
	v_cmp_eq_u32_e32 vcc_lo, 0x40f, v8
	s_wait_alu 0xfffd
	v_cndmask_b32_e32 v3, v9, v3, vcc_lo
	v_cmp_eq_u32_e32 vcc_lo, 0x40f, v10
	s_delay_alu instid0(VALU_DEP_2)
	v_and_or_b32 v3, 0x8000, v4, v3
	s_wait_alu 0xfffd
	v_cndmask_b32_e32 v5, v7, v5, vcc_lo
	v_add_co_u32 v0, vcc_lo, v0, s6
	s_wait_alu 0xfffd
	v_add_co_ci_u32_e32 v1, vcc_lo, s7, v1, vcc_lo
	s_delay_alu instid0(VALU_DEP_3) | instskip(SKIP_1) | instid1(VALU_DEP_1)
	v_and_or_b32 v4, 0x8000, v6, v5
	v_and_b32_e32 v3, 0xffff, v3
	v_lshl_or_b32 v3, v4, 16, v3
	global_store_b32 v[0:1], v3, off
	global_load_b32 v5, v[20:21], off offset:820
	ds_load_2addr_b32 v[3:4], v25 offset0:77 offset1:152
	s_wait_dscnt 0x0
	v_lshrrev_b32_e32 v6, 16, v3
	s_wait_loadcnt 0x0
	v_lshrrev_b32_e32 v7, 16, v5
	s_delay_alu instid0(VALU_DEP_1) | instskip(SKIP_1) | instid1(VALU_DEP_2)
	v_mul_f16_e32 v8, v6, v7
	v_mul_f16_e32 v7, v3, v7
	v_fmac_f16_e32 v8, v3, v5
	s_delay_alu instid0(VALU_DEP_2) | instskip(NEXT) | instid1(VALU_DEP_2)
	v_fma_f16 v3, v5, v6, -v7
	v_cvt_f32_f16_e32 v5, v8
	s_delay_alu instid0(VALU_DEP_2) | instskip(NEXT) | instid1(VALU_DEP_2)
	v_cvt_f32_f16_e32 v3, v3
	v_cvt_f64_f32_e32 v[5:6], v5
	s_delay_alu instid0(VALU_DEP_2) | instskip(NEXT) | instid1(VALU_DEP_2)
	v_cvt_f64_f32_e32 v[7:8], v3
	v_mul_f64_e32 v[5:6], s[8:9], v[5:6]
	s_delay_alu instid0(VALU_DEP_2) | instskip(NEXT) | instid1(VALU_DEP_2)
	v_mul_f64_e32 v[7:8], s[8:9], v[7:8]
	v_and_or_b32 v3, 0x1ff, v6, v5
	s_delay_alu instid0(VALU_DEP_2)
	v_and_or_b32 v7, 0x1ff, v8, v7
	v_lshrrev_b32_e32 v5, 8, v6
	v_bfe_u32 v9, v6, 20, 11
	v_lshrrev_b32_e32 v10, 8, v8
	v_cmp_ne_u32_e32 vcc_lo, 0, v3
	v_bfe_u32 v11, v8, 20, 11
	v_lshrrev_b32_e32 v6, 16, v6
	v_sub_nc_u32_e32 v12, 0x3f1, v9
	v_add_nc_u32_e32 v9, 0xfffffc10, v9
	s_wait_alu 0xfffd
	v_cndmask_b32_e64 v3, 0, 1, vcc_lo
	v_cmp_ne_u32_e32 vcc_lo, 0, v7
	v_lshrrev_b32_e32 v8, 16, v8
	s_delay_alu instid0(VALU_DEP_3) | instskip(SKIP_4) | instid1(VALU_DEP_3)
	v_and_or_b32 v3, 0xffe, v5, v3
	s_wait_alu 0xfffd
	v_cndmask_b32_e64 v7, 0, 1, vcc_lo
	v_sub_nc_u32_e32 v5, 0x3f1, v11
	v_add_nc_u32_e32 v11, 0xfffffc10, v11
	v_and_or_b32 v7, 0xffe, v10, v7
	v_med3_i32 v10, v12, 0, 13
	v_or_b32_e32 v12, 0x1000, v3
	v_med3_i32 v5, v5, 0, 13
	s_delay_alu instid0(VALU_DEP_4) | instskip(NEXT) | instid1(VALU_DEP_3)
	v_or_b32_e32 v13, 0x1000, v7
	v_lshrrev_b32_e32 v14, v10, v12
	s_delay_alu instid0(VALU_DEP_2) | instskip(NEXT) | instid1(VALU_DEP_2)
	v_lshrrev_b32_e32 v15, v5, v13
	v_lshlrev_b32_e32 v10, v10, v14
	s_delay_alu instid0(VALU_DEP_2) | instskip(NEXT) | instid1(VALU_DEP_2)
	v_lshlrev_b32_e32 v5, v5, v15
	v_cmp_ne_u32_e32 vcc_lo, v10, v12
	v_lshl_or_b32 v12, v9, 12, v3
	s_wait_alu 0xfffd
	v_cndmask_b32_e64 v10, 0, 1, vcc_lo
	v_cmp_ne_u32_e32 vcc_lo, v5, v13
	v_lshl_or_b32 v13, v11, 12, v7
	s_delay_alu instid0(VALU_DEP_3) | instskip(SKIP_3) | instid1(VALU_DEP_2)
	v_or_b32_e32 v10, v14, v10
	s_wait_alu 0xfffd
	v_cndmask_b32_e64 v5, 0, 1, vcc_lo
	v_cmp_gt_i32_e32 vcc_lo, 1, v9
	v_or_b32_e32 v5, v15, v5
	s_wait_alu 0xfffd
	v_cndmask_b32_e32 v10, v12, v10, vcc_lo
	v_cmp_gt_i32_e32 vcc_lo, 1, v11
	s_wait_alu 0xfffd
	s_delay_alu instid0(VALU_DEP_2) | instskip(SKIP_2) | instid1(VALU_DEP_3)
	v_dual_cndmask_b32 v5, v13, v5 :: v_dual_and_b32 v12, 7, v10
	v_cmp_ne_u32_e32 vcc_lo, 0, v3
	v_lshrrev_b32_e32 v10, 2, v10
	v_cmp_eq_u32_e64 s0, 3, v12
	s_delay_alu instid0(VALU_DEP_4)
	v_and_b32_e32 v13, 7, v5
	s_wait_alu 0xfffd
	v_cndmask_b32_e64 v3, 0, 1, vcc_lo
	v_cmp_ne_u32_e32 vcc_lo, 0, v7
	v_lshrrev_b32_e32 v5, 2, v5
	v_cmp_lt_i32_e64 s1, 5, v13
	v_cmp_eq_u32_e64 s2, 3, v13
	s_wait_alu 0xfffd
	v_cndmask_b32_e64 v7, 0, 1, vcc_lo
	v_cmp_lt_i32_e32 vcc_lo, 5, v12
	v_lshl_or_b32 v3, v3, 9, 0x7c00
	s_delay_alu instid0(VALU_DEP_3)
	v_lshl_or_b32 v7, v7, 9, 0x7c00
	s_or_b32 vcc_lo, s0, vcc_lo
	s_wait_alu 0xfffe
	v_add_co_ci_u32_e32 v10, vcc_lo, 0, v10, vcc_lo
	s_or_b32 vcc_lo, s2, s1
	s_wait_alu 0xfffe
	v_add_co_ci_u32_e32 v5, vcc_lo, 0, v5, vcc_lo
	v_cmp_gt_i32_e32 vcc_lo, 31, v9
	s_wait_alu 0xfffd
	v_cndmask_b32_e32 v10, 0x7c00, v10, vcc_lo
	v_cmp_gt_i32_e32 vcc_lo, 31, v11
	s_wait_alu 0xfffd
	v_cndmask_b32_e32 v5, 0x7c00, v5, vcc_lo
	v_cmp_eq_u32_e32 vcc_lo, 0x40f, v9
	s_wait_alu 0xfffd
	v_cndmask_b32_e32 v3, v10, v3, vcc_lo
	v_cmp_eq_u32_e32 vcc_lo, 0x40f, v11
	s_delay_alu instid0(VALU_DEP_2)
	v_and_or_b32 v3, 0x8000, v6, v3
	s_wait_alu 0xfffd
	v_cndmask_b32_e32 v5, v5, v7, vcc_lo
	v_add_co_u32 v0, vcc_lo, v0, s6
	s_wait_alu 0xfffd
	v_add_co_ci_u32_e32 v1, vcc_lo, s7, v1, vcc_lo
	s_delay_alu instid0(VALU_DEP_3) | instskip(SKIP_1) | instid1(VALU_DEP_1)
	v_and_or_b32 v5, 0x8000, v8, v5
	v_and_b32_e32 v3, 0xffff, v3
	v_lshl_or_b32 v3, v5, 16, v3
	v_lshrrev_b32_e32 v5, 16, v4
	global_store_b32 v[0:1], v3, off
	global_load_b32 v3, v[20:21], off offset:1120
	s_wait_loadcnt 0x0
	v_lshrrev_b32_e32 v6, 16, v3
	s_delay_alu instid0(VALU_DEP_1) | instskip(SKIP_1) | instid1(VALU_DEP_2)
	v_mul_f16_e32 v7, v5, v6
	v_mul_f16_e32 v6, v4, v6
	v_fmac_f16_e32 v7, v4, v3
	s_delay_alu instid0(VALU_DEP_2) | instskip(NEXT) | instid1(VALU_DEP_2)
	v_fma_f16 v3, v3, v5, -v6
	v_cvt_f32_f16_e32 v4, v7
	s_delay_alu instid0(VALU_DEP_2) | instskip(NEXT) | instid1(VALU_DEP_2)
	v_cvt_f32_f16_e32 v5, v3
	v_cvt_f64_f32_e32 v[3:4], v4
	s_delay_alu instid0(VALU_DEP_2) | instskip(NEXT) | instid1(VALU_DEP_2)
	v_cvt_f64_f32_e32 v[5:6], v5
	v_mul_f64_e32 v[3:4], s[8:9], v[3:4]
	s_delay_alu instid0(VALU_DEP_2) | instskip(NEXT) | instid1(VALU_DEP_2)
	v_mul_f64_e32 v[5:6], s[8:9], v[5:6]
	v_and_or_b32 v3, 0x1ff, v4, v3
	s_delay_alu instid0(VALU_DEP_2)
	v_and_or_b32 v5, 0x1ff, v6, v5
	v_lshrrev_b32_e32 v7, 8, v4
	v_bfe_u32 v8, v4, 20, 11
	v_lshrrev_b32_e32 v9, 8, v6
	v_cmp_ne_u32_e32 vcc_lo, 0, v3
	v_bfe_u32 v10, v6, 20, 11
	v_lshrrev_b32_e32 v4, 16, v4
	v_sub_nc_u32_e32 v11, 0x3f1, v8
	v_add_nc_u32_e32 v8, 0xfffffc10, v8
	s_wait_alu 0xfffd
	v_cndmask_b32_e64 v3, 0, 1, vcc_lo
	v_cmp_ne_u32_e32 vcc_lo, 0, v5
	v_lshrrev_b32_e32 v6, 16, v6
	s_delay_alu instid0(VALU_DEP_3) | instskip(SKIP_4) | instid1(VALU_DEP_3)
	v_and_or_b32 v3, 0xffe, v7, v3
	s_wait_alu 0xfffd
	v_cndmask_b32_e64 v5, 0, 1, vcc_lo
	v_sub_nc_u32_e32 v7, 0x3f1, v10
	v_add_nc_u32_e32 v10, 0xfffffc10, v10
	v_and_or_b32 v5, 0xffe, v9, v5
	v_med3_i32 v9, v11, 0, 13
	v_or_b32_e32 v11, 0x1000, v3
	v_med3_i32 v7, v7, 0, 13
	s_delay_alu instid0(VALU_DEP_4) | instskip(NEXT) | instid1(VALU_DEP_3)
	v_or_b32_e32 v12, 0x1000, v5
	v_lshrrev_b32_e32 v13, v9, v11
	s_delay_alu instid0(VALU_DEP_2) | instskip(NEXT) | instid1(VALU_DEP_2)
	v_lshrrev_b32_e32 v14, v7, v12
	v_lshlrev_b32_e32 v9, v9, v13
	s_delay_alu instid0(VALU_DEP_2) | instskip(NEXT) | instid1(VALU_DEP_2)
	v_lshlrev_b32_e32 v7, v7, v14
	v_cmp_ne_u32_e32 vcc_lo, v9, v11
	v_lshl_or_b32 v11, v8, 12, v3
	s_wait_alu 0xfffd
	v_cndmask_b32_e64 v9, 0, 1, vcc_lo
	v_cmp_ne_u32_e32 vcc_lo, v7, v12
	v_lshl_or_b32 v12, v10, 12, v5
	s_delay_alu instid0(VALU_DEP_3) | instskip(SKIP_3) | instid1(VALU_DEP_2)
	v_or_b32_e32 v9, v13, v9
	s_wait_alu 0xfffd
	v_cndmask_b32_e64 v7, 0, 1, vcc_lo
	v_cmp_gt_i32_e32 vcc_lo, 1, v8
	v_or_b32_e32 v7, v14, v7
	s_wait_alu 0xfffd
	v_cndmask_b32_e32 v9, v11, v9, vcc_lo
	v_cmp_gt_i32_e32 vcc_lo, 1, v10
	s_delay_alu instid0(VALU_DEP_2)
	v_and_b32_e32 v11, 7, v9
	s_wait_alu 0xfffd
	v_cndmask_b32_e32 v7, v12, v7, vcc_lo
	v_cmp_ne_u32_e32 vcc_lo, 0, v3
	v_lshrrev_b32_e32 v9, 2, v9
	v_cmp_eq_u32_e64 s0, 3, v11
	s_delay_alu instid0(VALU_DEP_4)
	v_and_b32_e32 v12, 7, v7
	s_wait_alu 0xfffd
	v_cndmask_b32_e64 v3, 0, 1, vcc_lo
	v_cmp_ne_u32_e32 vcc_lo, 0, v5
	v_lshrrev_b32_e32 v7, 2, v7
	v_cmp_lt_i32_e64 s1, 5, v12
	v_cmp_eq_u32_e64 s2, 3, v12
	s_wait_alu 0xfffd
	v_cndmask_b32_e64 v5, 0, 1, vcc_lo
	v_cmp_lt_i32_e32 vcc_lo, 5, v11
	v_lshl_or_b32 v3, v3, 9, 0x7c00
	s_delay_alu instid0(VALU_DEP_3)
	v_lshl_or_b32 v5, v5, 9, 0x7c00
	s_or_b32 vcc_lo, s0, vcc_lo
	s_wait_alu 0xfffe
	v_add_co_ci_u32_e32 v9, vcc_lo, 0, v9, vcc_lo
	s_or_b32 vcc_lo, s2, s1
	s_wait_alu 0xfffe
	v_add_co_ci_u32_e32 v7, vcc_lo, 0, v7, vcc_lo
	v_cmp_gt_i32_e32 vcc_lo, 31, v8
	s_wait_alu 0xfffd
	v_cndmask_b32_e32 v9, 0x7c00, v9, vcc_lo
	v_cmp_gt_i32_e32 vcc_lo, 31, v10
	s_wait_alu 0xfffd
	v_cndmask_b32_e32 v7, 0x7c00, v7, vcc_lo
	v_cmp_eq_u32_e32 vcc_lo, 0x40f, v8
	s_wait_alu 0xfffd
	v_cndmask_b32_e32 v3, v9, v3, vcc_lo
	v_cmp_eq_u32_e32 vcc_lo, 0x40f, v10
	s_delay_alu instid0(VALU_DEP_2)
	v_and_or_b32 v3, 0x8000, v4, v3
	s_wait_alu 0xfffd
	v_cndmask_b32_e32 v5, v7, v5, vcc_lo
	v_add_co_u32 v0, vcc_lo, v0, s6
	s_wait_alu 0xfffd
	v_add_co_ci_u32_e32 v1, vcc_lo, s7, v1, vcc_lo
	s_delay_alu instid0(VALU_DEP_3) | instskip(SKIP_1) | instid1(VALU_DEP_1)
	v_and_or_b32 v4, 0x8000, v6, v5
	v_and_b32_e32 v3, 0xffff, v3
	v_lshl_or_b32 v3, v4, 16, v3
	global_store_b32 v[0:1], v3, off
	global_load_b32 v5, v[20:21], off offset:1420
	ds_load_2addr_b32 v[3:4], v24 offset0:99 offset1:174
	s_wait_dscnt 0x0
	v_lshrrev_b32_e32 v6, 16, v3
	s_wait_loadcnt 0x0
	v_lshrrev_b32_e32 v7, 16, v5
	s_delay_alu instid0(VALU_DEP_1) | instskip(SKIP_1) | instid1(VALU_DEP_2)
	v_mul_f16_e32 v8, v6, v7
	v_mul_f16_e32 v7, v3, v7
	v_fmac_f16_e32 v8, v3, v5
	s_delay_alu instid0(VALU_DEP_2) | instskip(NEXT) | instid1(VALU_DEP_2)
	v_fma_f16 v3, v5, v6, -v7
	v_cvt_f32_f16_e32 v5, v8
	s_delay_alu instid0(VALU_DEP_2) | instskip(NEXT) | instid1(VALU_DEP_2)
	v_cvt_f32_f16_e32 v3, v3
	v_cvt_f64_f32_e32 v[5:6], v5
	s_delay_alu instid0(VALU_DEP_2) | instskip(NEXT) | instid1(VALU_DEP_2)
	v_cvt_f64_f32_e32 v[7:8], v3
	v_mul_f64_e32 v[5:6], s[8:9], v[5:6]
	s_delay_alu instid0(VALU_DEP_2) | instskip(NEXT) | instid1(VALU_DEP_2)
	v_mul_f64_e32 v[7:8], s[8:9], v[7:8]
	v_and_or_b32 v3, 0x1ff, v6, v5
	s_delay_alu instid0(VALU_DEP_2)
	v_and_or_b32 v7, 0x1ff, v8, v7
	v_lshrrev_b32_e32 v5, 8, v6
	v_bfe_u32 v9, v6, 20, 11
	v_lshrrev_b32_e32 v10, 8, v8
	v_cmp_ne_u32_e32 vcc_lo, 0, v3
	v_bfe_u32 v11, v8, 20, 11
	v_lshrrev_b32_e32 v6, 16, v6
	v_sub_nc_u32_e32 v12, 0x3f1, v9
	v_add_nc_u32_e32 v9, 0xfffffc10, v9
	s_wait_alu 0xfffd
	v_cndmask_b32_e64 v3, 0, 1, vcc_lo
	v_cmp_ne_u32_e32 vcc_lo, 0, v7
	v_lshrrev_b32_e32 v8, 16, v8
	s_delay_alu instid0(VALU_DEP_3) | instskip(SKIP_4) | instid1(VALU_DEP_3)
	v_and_or_b32 v3, 0xffe, v5, v3
	s_wait_alu 0xfffd
	v_cndmask_b32_e64 v7, 0, 1, vcc_lo
	v_sub_nc_u32_e32 v5, 0x3f1, v11
	v_add_nc_u32_e32 v11, 0xfffffc10, v11
	v_and_or_b32 v7, 0xffe, v10, v7
	v_med3_i32 v10, v12, 0, 13
	v_or_b32_e32 v12, 0x1000, v3
	v_med3_i32 v5, v5, 0, 13
	s_delay_alu instid0(VALU_DEP_4) | instskip(NEXT) | instid1(VALU_DEP_3)
	v_or_b32_e32 v13, 0x1000, v7
	v_lshrrev_b32_e32 v14, v10, v12
	s_delay_alu instid0(VALU_DEP_2) | instskip(NEXT) | instid1(VALU_DEP_2)
	v_lshrrev_b32_e32 v15, v5, v13
	v_lshlrev_b32_e32 v10, v10, v14
	s_delay_alu instid0(VALU_DEP_2) | instskip(NEXT) | instid1(VALU_DEP_2)
	v_lshlrev_b32_e32 v5, v5, v15
	v_cmp_ne_u32_e32 vcc_lo, v10, v12
	v_lshl_or_b32 v12, v9, 12, v3
	s_wait_alu 0xfffd
	v_cndmask_b32_e64 v10, 0, 1, vcc_lo
	v_cmp_ne_u32_e32 vcc_lo, v5, v13
	v_lshl_or_b32 v13, v11, 12, v7
	s_delay_alu instid0(VALU_DEP_3) | instskip(SKIP_3) | instid1(VALU_DEP_2)
	v_or_b32_e32 v10, v14, v10
	s_wait_alu 0xfffd
	v_cndmask_b32_e64 v5, 0, 1, vcc_lo
	v_cmp_gt_i32_e32 vcc_lo, 1, v9
	v_or_b32_e32 v5, v15, v5
	s_wait_alu 0xfffd
	v_cndmask_b32_e32 v10, v12, v10, vcc_lo
	v_cmp_gt_i32_e32 vcc_lo, 1, v11
	s_wait_alu 0xfffd
	s_delay_alu instid0(VALU_DEP_2) | instskip(SKIP_2) | instid1(VALU_DEP_3)
	v_dual_cndmask_b32 v5, v13, v5 :: v_dual_and_b32 v12, 7, v10
	v_cmp_ne_u32_e32 vcc_lo, 0, v3
	v_lshrrev_b32_e32 v10, 2, v10
	v_cmp_eq_u32_e64 s0, 3, v12
	s_delay_alu instid0(VALU_DEP_4)
	v_and_b32_e32 v13, 7, v5
	s_wait_alu 0xfffd
	v_cndmask_b32_e64 v3, 0, 1, vcc_lo
	v_cmp_ne_u32_e32 vcc_lo, 0, v7
	v_lshrrev_b32_e32 v5, 2, v5
	v_cmp_lt_i32_e64 s1, 5, v13
	v_cmp_eq_u32_e64 s2, 3, v13
	s_wait_alu 0xfffd
	v_cndmask_b32_e64 v7, 0, 1, vcc_lo
	v_cmp_lt_i32_e32 vcc_lo, 5, v12
	v_lshl_or_b32 v3, v3, 9, 0x7c00
	s_delay_alu instid0(VALU_DEP_3)
	v_lshl_or_b32 v7, v7, 9, 0x7c00
	s_or_b32 vcc_lo, s0, vcc_lo
	s_wait_alu 0xfffe
	v_add_co_ci_u32_e32 v10, vcc_lo, 0, v10, vcc_lo
	s_or_b32 vcc_lo, s2, s1
	s_wait_alu 0xfffe
	v_add_co_ci_u32_e32 v5, vcc_lo, 0, v5, vcc_lo
	v_cmp_gt_i32_e32 vcc_lo, 31, v9
	s_wait_alu 0xfffd
	v_cndmask_b32_e32 v10, 0x7c00, v10, vcc_lo
	v_cmp_gt_i32_e32 vcc_lo, 31, v11
	s_wait_alu 0xfffd
	v_cndmask_b32_e32 v5, 0x7c00, v5, vcc_lo
	v_cmp_eq_u32_e32 vcc_lo, 0x40f, v9
	s_wait_alu 0xfffd
	v_cndmask_b32_e32 v3, v10, v3, vcc_lo
	v_cmp_eq_u32_e32 vcc_lo, 0x40f, v11
	s_delay_alu instid0(VALU_DEP_2)
	v_and_or_b32 v3, 0x8000, v6, v3
	s_wait_alu 0xfffd
	v_cndmask_b32_e32 v5, v5, v7, vcc_lo
	v_add_co_u32 v0, vcc_lo, v0, s6
	s_wait_alu 0xfffd
	v_add_co_ci_u32_e32 v1, vcc_lo, s7, v1, vcc_lo
	s_delay_alu instid0(VALU_DEP_3) | instskip(SKIP_1) | instid1(VALU_DEP_1)
	v_and_or_b32 v5, 0x8000, v8, v5
	v_and_b32_e32 v3, 0xffff, v3
	v_lshl_or_b32 v3, v5, 16, v3
	v_lshrrev_b32_e32 v5, 16, v4
	global_store_b32 v[0:1], v3, off
	global_load_b32 v3, v[20:21], off offset:1720
	s_wait_loadcnt 0x0
	v_lshrrev_b32_e32 v6, 16, v3
	s_delay_alu instid0(VALU_DEP_1) | instskip(SKIP_1) | instid1(VALU_DEP_2)
	v_mul_f16_e32 v7, v5, v6
	v_mul_f16_e32 v6, v4, v6
	v_fmac_f16_e32 v7, v4, v3
	s_delay_alu instid0(VALU_DEP_2) | instskip(NEXT) | instid1(VALU_DEP_2)
	v_fma_f16 v3, v3, v5, -v6
	v_cvt_f32_f16_e32 v4, v7
	s_delay_alu instid0(VALU_DEP_2) | instskip(NEXT) | instid1(VALU_DEP_2)
	v_cvt_f32_f16_e32 v5, v3
	v_cvt_f64_f32_e32 v[3:4], v4
	s_delay_alu instid0(VALU_DEP_2) | instskip(NEXT) | instid1(VALU_DEP_2)
	v_cvt_f64_f32_e32 v[5:6], v5
	v_mul_f64_e32 v[3:4], s[8:9], v[3:4]
	s_delay_alu instid0(VALU_DEP_2) | instskip(NEXT) | instid1(VALU_DEP_2)
	v_mul_f64_e32 v[5:6], s[8:9], v[5:6]
	v_and_or_b32 v3, 0x1ff, v4, v3
	s_delay_alu instid0(VALU_DEP_2)
	v_and_or_b32 v5, 0x1ff, v6, v5
	v_lshrrev_b32_e32 v7, 8, v4
	v_bfe_u32 v8, v4, 20, 11
	v_lshrrev_b32_e32 v9, 8, v6
	v_cmp_ne_u32_e32 vcc_lo, 0, v3
	v_bfe_u32 v10, v6, 20, 11
	v_lshrrev_b32_e32 v4, 16, v4
	v_sub_nc_u32_e32 v11, 0x3f1, v8
	v_add_nc_u32_e32 v8, 0xfffffc10, v8
	s_wait_alu 0xfffd
	v_cndmask_b32_e64 v3, 0, 1, vcc_lo
	v_cmp_ne_u32_e32 vcc_lo, 0, v5
	v_lshrrev_b32_e32 v6, 16, v6
	s_delay_alu instid0(VALU_DEP_3) | instskip(SKIP_4) | instid1(VALU_DEP_3)
	v_and_or_b32 v3, 0xffe, v7, v3
	s_wait_alu 0xfffd
	v_cndmask_b32_e64 v5, 0, 1, vcc_lo
	v_sub_nc_u32_e32 v7, 0x3f1, v10
	v_add_nc_u32_e32 v10, 0xfffffc10, v10
	v_and_or_b32 v5, 0xffe, v9, v5
	v_med3_i32 v9, v11, 0, 13
	v_or_b32_e32 v11, 0x1000, v3
	v_med3_i32 v7, v7, 0, 13
	s_delay_alu instid0(VALU_DEP_4) | instskip(NEXT) | instid1(VALU_DEP_3)
	v_or_b32_e32 v12, 0x1000, v5
	v_lshrrev_b32_e32 v13, v9, v11
	s_delay_alu instid0(VALU_DEP_2) | instskip(NEXT) | instid1(VALU_DEP_2)
	v_lshrrev_b32_e32 v14, v7, v12
	v_lshlrev_b32_e32 v9, v9, v13
	s_delay_alu instid0(VALU_DEP_2) | instskip(NEXT) | instid1(VALU_DEP_2)
	v_lshlrev_b32_e32 v7, v7, v14
	v_cmp_ne_u32_e32 vcc_lo, v9, v11
	v_lshl_or_b32 v11, v8, 12, v3
	s_wait_alu 0xfffd
	v_cndmask_b32_e64 v9, 0, 1, vcc_lo
	v_cmp_ne_u32_e32 vcc_lo, v7, v12
	v_lshl_or_b32 v12, v10, 12, v5
	s_delay_alu instid0(VALU_DEP_3) | instskip(SKIP_3) | instid1(VALU_DEP_2)
	v_or_b32_e32 v9, v13, v9
	s_wait_alu 0xfffd
	v_cndmask_b32_e64 v7, 0, 1, vcc_lo
	v_cmp_gt_i32_e32 vcc_lo, 1, v8
	v_or_b32_e32 v7, v14, v7
	s_wait_alu 0xfffd
	v_cndmask_b32_e32 v9, v11, v9, vcc_lo
	v_cmp_gt_i32_e32 vcc_lo, 1, v10
	s_delay_alu instid0(VALU_DEP_2)
	v_and_b32_e32 v11, 7, v9
	s_wait_alu 0xfffd
	v_cndmask_b32_e32 v7, v12, v7, vcc_lo
	v_cmp_ne_u32_e32 vcc_lo, 0, v3
	v_lshrrev_b32_e32 v9, 2, v9
	v_cmp_eq_u32_e64 s0, 3, v11
	s_delay_alu instid0(VALU_DEP_4)
	v_and_b32_e32 v12, 7, v7
	s_wait_alu 0xfffd
	v_cndmask_b32_e64 v3, 0, 1, vcc_lo
	v_cmp_ne_u32_e32 vcc_lo, 0, v5
	v_lshrrev_b32_e32 v7, 2, v7
	v_cmp_lt_i32_e64 s1, 5, v12
	v_cmp_eq_u32_e64 s2, 3, v12
	s_wait_alu 0xfffd
	v_cndmask_b32_e64 v5, 0, 1, vcc_lo
	v_cmp_lt_i32_e32 vcc_lo, 5, v11
	v_lshl_or_b32 v3, v3, 9, 0x7c00
	s_delay_alu instid0(VALU_DEP_3)
	v_lshl_or_b32 v5, v5, 9, 0x7c00
	s_or_b32 vcc_lo, s0, vcc_lo
	s_wait_alu 0xfffe
	v_add_co_ci_u32_e32 v9, vcc_lo, 0, v9, vcc_lo
	s_or_b32 vcc_lo, s2, s1
	s_wait_alu 0xfffe
	v_add_co_ci_u32_e32 v7, vcc_lo, 0, v7, vcc_lo
	v_cmp_gt_i32_e32 vcc_lo, 31, v8
	s_wait_alu 0xfffd
	v_cndmask_b32_e32 v9, 0x7c00, v9, vcc_lo
	v_cmp_gt_i32_e32 vcc_lo, 31, v10
	s_wait_alu 0xfffd
	v_cndmask_b32_e32 v7, 0x7c00, v7, vcc_lo
	v_cmp_eq_u32_e32 vcc_lo, 0x40f, v8
	s_wait_alu 0xfffd
	v_cndmask_b32_e32 v3, v9, v3, vcc_lo
	v_cmp_eq_u32_e32 vcc_lo, 0x40f, v10
	s_delay_alu instid0(VALU_DEP_2)
	v_and_or_b32 v3, 0x8000, v4, v3
	s_wait_alu 0xfffd
	v_cndmask_b32_e32 v5, v7, v5, vcc_lo
	v_add_co_u32 v0, vcc_lo, v0, s6
	s_wait_alu 0xfffd
	v_add_co_ci_u32_e32 v1, vcc_lo, s7, v1, vcc_lo
	s_delay_alu instid0(VALU_DEP_3) | instskip(SKIP_1) | instid1(VALU_DEP_1)
	v_and_or_b32 v4, 0x8000, v6, v5
	v_and_b32_e32 v3, 0xffff, v3
	v_lshl_or_b32 v3, v4, 16, v3
	global_store_b32 v[0:1], v3, off
	global_load_b32 v4, v[20:21], off offset:2020
	ds_load_2addr_b32 v[2:3], v2 offset0:121 offset1:196
	s_wait_dscnt 0x0
	v_lshrrev_b32_e32 v5, 16, v2
	s_wait_loadcnt 0x0
	v_lshrrev_b32_e32 v6, 16, v4
	s_delay_alu instid0(VALU_DEP_1) | instskip(SKIP_1) | instid1(VALU_DEP_2)
	v_mul_f16_e32 v7, v5, v6
	v_mul_f16_e32 v6, v2, v6
	v_fmac_f16_e32 v7, v2, v4
	s_delay_alu instid0(VALU_DEP_2) | instskip(NEXT) | instid1(VALU_DEP_2)
	v_fma_f16 v2, v4, v5, -v6
	v_cvt_f32_f16_e32 v4, v7
	s_delay_alu instid0(VALU_DEP_2) | instskip(NEXT) | instid1(VALU_DEP_2)
	v_cvt_f32_f16_e32 v2, v2
	v_cvt_f64_f32_e32 v[4:5], v4
	s_delay_alu instid0(VALU_DEP_2) | instskip(NEXT) | instid1(VALU_DEP_2)
	v_cvt_f64_f32_e32 v[6:7], v2
	v_mul_f64_e32 v[4:5], s[8:9], v[4:5]
	s_delay_alu instid0(VALU_DEP_2) | instskip(NEXT) | instid1(VALU_DEP_2)
	v_mul_f64_e32 v[6:7], s[8:9], v[6:7]
	v_and_or_b32 v2, 0x1ff, v5, v4
	s_delay_alu instid0(VALU_DEP_2)
	v_and_or_b32 v6, 0x1ff, v7, v6
	v_lshrrev_b32_e32 v4, 8, v5
	v_bfe_u32 v8, v5, 20, 11
	v_lshrrev_b32_e32 v9, 8, v7
	v_cmp_ne_u32_e32 vcc_lo, 0, v2
	v_bfe_u32 v10, v7, 20, 11
	v_lshrrev_b32_e32 v5, 16, v5
	v_sub_nc_u32_e32 v11, 0x3f1, v8
	v_add_nc_u32_e32 v8, 0xfffffc10, v8
	s_wait_alu 0xfffd
	v_cndmask_b32_e64 v2, 0, 1, vcc_lo
	v_cmp_ne_u32_e32 vcc_lo, 0, v6
	v_lshrrev_b32_e32 v7, 16, v7
	s_delay_alu instid0(VALU_DEP_3) | instskip(SKIP_4) | instid1(VALU_DEP_3)
	v_and_or_b32 v2, 0xffe, v4, v2
	s_wait_alu 0xfffd
	v_cndmask_b32_e64 v6, 0, 1, vcc_lo
	v_sub_nc_u32_e32 v4, 0x3f1, v10
	v_add_nc_u32_e32 v10, 0xfffffc10, v10
	v_and_or_b32 v6, 0xffe, v9, v6
	v_med3_i32 v9, v11, 0, 13
	v_or_b32_e32 v11, 0x1000, v2
	v_med3_i32 v4, v4, 0, 13
	s_delay_alu instid0(VALU_DEP_4) | instskip(NEXT) | instid1(VALU_DEP_3)
	v_or_b32_e32 v12, 0x1000, v6
	v_lshrrev_b32_e32 v13, v9, v11
	s_delay_alu instid0(VALU_DEP_2) | instskip(NEXT) | instid1(VALU_DEP_2)
	v_lshrrev_b32_e32 v14, v4, v12
	v_lshlrev_b32_e32 v9, v9, v13
	s_delay_alu instid0(VALU_DEP_2) | instskip(NEXT) | instid1(VALU_DEP_2)
	v_lshlrev_b32_e32 v4, v4, v14
	v_cmp_ne_u32_e32 vcc_lo, v9, v11
	v_lshl_or_b32 v11, v8, 12, v2
	s_wait_alu 0xfffd
	v_cndmask_b32_e64 v9, 0, 1, vcc_lo
	v_cmp_ne_u32_e32 vcc_lo, v4, v12
	v_lshl_or_b32 v12, v10, 12, v6
	s_delay_alu instid0(VALU_DEP_3) | instskip(SKIP_3) | instid1(VALU_DEP_2)
	v_or_b32_e32 v9, v13, v9
	s_wait_alu 0xfffd
	v_cndmask_b32_e64 v4, 0, 1, vcc_lo
	v_cmp_gt_i32_e32 vcc_lo, 1, v8
	v_or_b32_e32 v4, v14, v4
	s_wait_alu 0xfffd
	v_cndmask_b32_e32 v9, v11, v9, vcc_lo
	v_cmp_gt_i32_e32 vcc_lo, 1, v10
	s_wait_alu 0xfffd
	s_delay_alu instid0(VALU_DEP_2) | instskip(SKIP_2) | instid1(VALU_DEP_3)
	v_dual_cndmask_b32 v4, v12, v4 :: v_dual_and_b32 v11, 7, v9
	v_cmp_ne_u32_e32 vcc_lo, 0, v2
	v_lshrrev_b32_e32 v9, 2, v9
	v_cmp_eq_u32_e64 s0, 3, v11
	s_delay_alu instid0(VALU_DEP_4)
	v_and_b32_e32 v12, 7, v4
	s_wait_alu 0xfffd
	v_cndmask_b32_e64 v2, 0, 1, vcc_lo
	v_cmp_ne_u32_e32 vcc_lo, 0, v6
	v_lshrrev_b32_e32 v4, 2, v4
	v_cmp_lt_i32_e64 s1, 5, v12
	v_cmp_eq_u32_e64 s2, 3, v12
	s_wait_alu 0xfffd
	v_cndmask_b32_e64 v6, 0, 1, vcc_lo
	v_cmp_lt_i32_e32 vcc_lo, 5, v11
	v_lshl_or_b32 v2, v2, 9, 0x7c00
	s_delay_alu instid0(VALU_DEP_3)
	v_lshl_or_b32 v6, v6, 9, 0x7c00
	s_or_b32 vcc_lo, s0, vcc_lo
	s_wait_alu 0xfffe
	v_add_co_ci_u32_e32 v9, vcc_lo, 0, v9, vcc_lo
	s_or_b32 vcc_lo, s2, s1
	s_wait_alu 0xfffe
	v_add_co_ci_u32_e32 v4, vcc_lo, 0, v4, vcc_lo
	v_cmp_gt_i32_e32 vcc_lo, 31, v8
	s_wait_alu 0xfffd
	v_cndmask_b32_e32 v9, 0x7c00, v9, vcc_lo
	v_cmp_gt_i32_e32 vcc_lo, 31, v10
	s_wait_alu 0xfffd
	v_cndmask_b32_e32 v4, 0x7c00, v4, vcc_lo
	v_cmp_eq_u32_e32 vcc_lo, 0x40f, v8
	s_wait_alu 0xfffd
	v_cndmask_b32_e32 v2, v9, v2, vcc_lo
	v_cmp_eq_u32_e32 vcc_lo, 0x40f, v10
	s_delay_alu instid0(VALU_DEP_2)
	v_and_or_b32 v2, 0x8000, v5, v2
	s_wait_alu 0xfffd
	v_cndmask_b32_e32 v4, v4, v6, vcc_lo
	v_add_co_u32 v0, vcc_lo, v0, s6
	s_wait_alu 0xfffd
	v_add_co_ci_u32_e32 v1, vcc_lo, s7, v1, vcc_lo
	s_delay_alu instid0(VALU_DEP_3) | instskip(SKIP_1) | instid1(VALU_DEP_1)
	v_and_or_b32 v4, 0x8000, v7, v4
	v_and_b32_e32 v2, 0xffff, v2
	v_lshl_or_b32 v2, v4, 16, v2
	v_lshrrev_b32_e32 v4, 16, v3
	global_store_b32 v[0:1], v2, off
	global_load_b32 v2, v[20:21], off offset:2320
	s_wait_loadcnt 0x0
	v_lshrrev_b32_e32 v5, 16, v2
	s_delay_alu instid0(VALU_DEP_1) | instskip(SKIP_1) | instid1(VALU_DEP_2)
	v_mul_f16_e32 v6, v4, v5
	v_mul_f16_e32 v5, v3, v5
	v_fmac_f16_e32 v6, v3, v2
	s_delay_alu instid0(VALU_DEP_2) | instskip(NEXT) | instid1(VALU_DEP_2)
	v_fma_f16 v2, v2, v4, -v5
	v_cvt_f32_f16_e32 v3, v6
	s_delay_alu instid0(VALU_DEP_2) | instskip(NEXT) | instid1(VALU_DEP_2)
	v_cvt_f32_f16_e32 v4, v2
	v_cvt_f64_f32_e32 v[2:3], v3
	s_delay_alu instid0(VALU_DEP_2) | instskip(NEXT) | instid1(VALU_DEP_2)
	v_cvt_f64_f32_e32 v[4:5], v4
	v_mul_f64_e32 v[2:3], s[8:9], v[2:3]
	s_delay_alu instid0(VALU_DEP_2) | instskip(NEXT) | instid1(VALU_DEP_2)
	v_mul_f64_e32 v[4:5], s[8:9], v[4:5]
	v_and_or_b32 v2, 0x1ff, v3, v2
	s_delay_alu instid0(VALU_DEP_2)
	v_and_or_b32 v4, 0x1ff, v5, v4
	v_lshrrev_b32_e32 v6, 8, v3
	v_bfe_u32 v7, v3, 20, 11
	v_lshrrev_b32_e32 v8, 8, v5
	v_cmp_ne_u32_e32 vcc_lo, 0, v2
	v_bfe_u32 v9, v5, 20, 11
	v_lshrrev_b32_e32 v3, 16, v3
	v_sub_nc_u32_e32 v10, 0x3f1, v7
	v_add_nc_u32_e32 v7, 0xfffffc10, v7
	s_wait_alu 0xfffd
	v_cndmask_b32_e64 v2, 0, 1, vcc_lo
	v_cmp_ne_u32_e32 vcc_lo, 0, v4
	v_lshrrev_b32_e32 v5, 16, v5
	s_delay_alu instid0(VALU_DEP_3) | instskip(SKIP_4) | instid1(VALU_DEP_3)
	v_and_or_b32 v2, 0xffe, v6, v2
	s_wait_alu 0xfffd
	v_cndmask_b32_e64 v4, 0, 1, vcc_lo
	v_sub_nc_u32_e32 v6, 0x3f1, v9
	v_add_nc_u32_e32 v9, 0xfffffc10, v9
	v_and_or_b32 v4, 0xffe, v8, v4
	v_med3_i32 v8, v10, 0, 13
	v_or_b32_e32 v10, 0x1000, v2
	v_med3_i32 v6, v6, 0, 13
	s_delay_alu instid0(VALU_DEP_4) | instskip(NEXT) | instid1(VALU_DEP_3)
	v_or_b32_e32 v11, 0x1000, v4
	v_lshrrev_b32_e32 v12, v8, v10
	s_delay_alu instid0(VALU_DEP_2) | instskip(NEXT) | instid1(VALU_DEP_2)
	v_lshrrev_b32_e32 v13, v6, v11
	v_lshlrev_b32_e32 v8, v8, v12
	s_delay_alu instid0(VALU_DEP_2) | instskip(NEXT) | instid1(VALU_DEP_2)
	v_lshlrev_b32_e32 v6, v6, v13
	v_cmp_ne_u32_e32 vcc_lo, v8, v10
	v_lshl_or_b32 v10, v7, 12, v2
	s_wait_alu 0xfffd
	v_cndmask_b32_e64 v8, 0, 1, vcc_lo
	v_cmp_ne_u32_e32 vcc_lo, v6, v11
	v_lshl_or_b32 v11, v9, 12, v4
	s_delay_alu instid0(VALU_DEP_3) | instskip(SKIP_3) | instid1(VALU_DEP_2)
	v_or_b32_e32 v8, v12, v8
	s_wait_alu 0xfffd
	v_cndmask_b32_e64 v6, 0, 1, vcc_lo
	v_cmp_gt_i32_e32 vcc_lo, 1, v7
	v_or_b32_e32 v6, v13, v6
	s_wait_alu 0xfffd
	v_cndmask_b32_e32 v8, v10, v8, vcc_lo
	v_cmp_gt_i32_e32 vcc_lo, 1, v9
	s_delay_alu instid0(VALU_DEP_2)
	v_and_b32_e32 v10, 7, v8
	s_wait_alu 0xfffd
	v_cndmask_b32_e32 v6, v11, v6, vcc_lo
	v_cmp_ne_u32_e32 vcc_lo, 0, v2
	v_lshrrev_b32_e32 v8, 2, v8
	v_cmp_eq_u32_e64 s0, 3, v10
	s_delay_alu instid0(VALU_DEP_4)
	v_and_b32_e32 v11, 7, v6
	s_wait_alu 0xfffd
	v_cndmask_b32_e64 v2, 0, 1, vcc_lo
	v_cmp_ne_u32_e32 vcc_lo, 0, v4
	v_lshrrev_b32_e32 v6, 2, v6
	v_cmp_lt_i32_e64 s1, 5, v11
	v_cmp_eq_u32_e64 s2, 3, v11
	s_wait_alu 0xfffd
	v_cndmask_b32_e64 v4, 0, 1, vcc_lo
	v_cmp_lt_i32_e32 vcc_lo, 5, v10
	v_lshl_or_b32 v2, v2, 9, 0x7c00
	s_delay_alu instid0(VALU_DEP_3)
	v_lshl_or_b32 v4, v4, 9, 0x7c00
	s_or_b32 vcc_lo, s0, vcc_lo
	s_wait_alu 0xfffe
	v_add_co_ci_u32_e32 v8, vcc_lo, 0, v8, vcc_lo
	s_or_b32 vcc_lo, s2, s1
	s_wait_alu 0xfffe
	v_add_co_ci_u32_e32 v6, vcc_lo, 0, v6, vcc_lo
	v_cmp_gt_i32_e32 vcc_lo, 31, v7
	s_wait_alu 0xfffd
	v_cndmask_b32_e32 v8, 0x7c00, v8, vcc_lo
	v_cmp_gt_i32_e32 vcc_lo, 31, v9
	s_wait_alu 0xfffd
	v_cndmask_b32_e32 v6, 0x7c00, v6, vcc_lo
	v_cmp_eq_u32_e32 vcc_lo, 0x40f, v7
	s_wait_alu 0xfffd
	v_cndmask_b32_e32 v2, v8, v2, vcc_lo
	v_cmp_eq_u32_e32 vcc_lo, 0x40f, v9
	s_delay_alu instid0(VALU_DEP_2)
	v_and_or_b32 v2, 0x8000, v3, v2
	s_wait_alu 0xfffd
	v_cndmask_b32_e32 v4, v6, v4, vcc_lo
	v_add_co_u32 v0, vcc_lo, v0, s6
	s_wait_alu 0xfffd
	v_add_co_ci_u32_e32 v1, vcc_lo, s7, v1, vcc_lo
	s_delay_alu instid0(VALU_DEP_3) | instskip(SKIP_1) | instid1(VALU_DEP_1)
	v_and_or_b32 v3, 0x8000, v5, v4
	v_and_b32_e32 v2, 0xffff, v2
	v_lshl_or_b32 v2, v3, 16, v2
	global_store_b32 v[0:1], v2, off
	global_load_b32 v4, v[20:21], off offset:2620
	ds_load_2addr_b32 v[2:3], v23 offset0:143 offset1:218
	s_wait_dscnt 0x0
	v_lshrrev_b32_e32 v5, 16, v2
	s_wait_loadcnt 0x0
	v_lshrrev_b32_e32 v6, 16, v4
	s_delay_alu instid0(VALU_DEP_1) | instskip(SKIP_1) | instid1(VALU_DEP_2)
	v_mul_f16_e32 v7, v5, v6
	v_mul_f16_e32 v6, v2, v6
	v_fmac_f16_e32 v7, v2, v4
	s_delay_alu instid0(VALU_DEP_2) | instskip(NEXT) | instid1(VALU_DEP_2)
	v_fma_f16 v2, v4, v5, -v6
	v_cvt_f32_f16_e32 v4, v7
	s_delay_alu instid0(VALU_DEP_2) | instskip(NEXT) | instid1(VALU_DEP_2)
	v_cvt_f32_f16_e32 v2, v2
	v_cvt_f64_f32_e32 v[4:5], v4
	s_delay_alu instid0(VALU_DEP_2) | instskip(NEXT) | instid1(VALU_DEP_2)
	v_cvt_f64_f32_e32 v[6:7], v2
	v_mul_f64_e32 v[4:5], s[8:9], v[4:5]
	s_delay_alu instid0(VALU_DEP_2) | instskip(NEXT) | instid1(VALU_DEP_2)
	v_mul_f64_e32 v[6:7], s[8:9], v[6:7]
	v_and_or_b32 v2, 0x1ff, v5, v4
	s_delay_alu instid0(VALU_DEP_2)
	v_and_or_b32 v6, 0x1ff, v7, v6
	v_lshrrev_b32_e32 v4, 8, v5
	v_bfe_u32 v8, v5, 20, 11
	v_lshrrev_b32_e32 v9, 8, v7
	v_cmp_ne_u32_e32 vcc_lo, 0, v2
	v_bfe_u32 v10, v7, 20, 11
	v_lshrrev_b32_e32 v5, 16, v5
	v_sub_nc_u32_e32 v11, 0x3f1, v8
	v_add_nc_u32_e32 v8, 0xfffffc10, v8
	s_wait_alu 0xfffd
	v_cndmask_b32_e64 v2, 0, 1, vcc_lo
	v_cmp_ne_u32_e32 vcc_lo, 0, v6
	v_lshrrev_b32_e32 v7, 16, v7
	s_delay_alu instid0(VALU_DEP_3) | instskip(SKIP_4) | instid1(VALU_DEP_3)
	v_and_or_b32 v2, 0xffe, v4, v2
	s_wait_alu 0xfffd
	v_cndmask_b32_e64 v6, 0, 1, vcc_lo
	v_sub_nc_u32_e32 v4, 0x3f1, v10
	v_add_nc_u32_e32 v10, 0xfffffc10, v10
	v_and_or_b32 v6, 0xffe, v9, v6
	v_med3_i32 v9, v11, 0, 13
	v_or_b32_e32 v11, 0x1000, v2
	v_med3_i32 v4, v4, 0, 13
	s_delay_alu instid0(VALU_DEP_4) | instskip(NEXT) | instid1(VALU_DEP_3)
	v_or_b32_e32 v12, 0x1000, v6
	v_lshrrev_b32_e32 v13, v9, v11
	s_delay_alu instid0(VALU_DEP_2) | instskip(NEXT) | instid1(VALU_DEP_2)
	v_lshrrev_b32_e32 v14, v4, v12
	v_lshlrev_b32_e32 v9, v9, v13
	s_delay_alu instid0(VALU_DEP_2) | instskip(NEXT) | instid1(VALU_DEP_2)
	v_lshlrev_b32_e32 v4, v4, v14
	v_cmp_ne_u32_e32 vcc_lo, v9, v11
	v_lshl_or_b32 v11, v8, 12, v2
	s_wait_alu 0xfffd
	v_cndmask_b32_e64 v9, 0, 1, vcc_lo
	v_cmp_ne_u32_e32 vcc_lo, v4, v12
	v_lshl_or_b32 v12, v10, 12, v6
	s_delay_alu instid0(VALU_DEP_3) | instskip(SKIP_3) | instid1(VALU_DEP_2)
	v_or_b32_e32 v9, v13, v9
	s_wait_alu 0xfffd
	v_cndmask_b32_e64 v4, 0, 1, vcc_lo
	v_cmp_gt_i32_e32 vcc_lo, 1, v8
	v_or_b32_e32 v4, v14, v4
	s_wait_alu 0xfffd
	v_cndmask_b32_e32 v9, v11, v9, vcc_lo
	v_cmp_gt_i32_e32 vcc_lo, 1, v10
	s_wait_alu 0xfffd
	s_delay_alu instid0(VALU_DEP_2) | instskip(SKIP_2) | instid1(VALU_DEP_3)
	v_dual_cndmask_b32 v4, v12, v4 :: v_dual_and_b32 v11, 7, v9
	v_cmp_ne_u32_e32 vcc_lo, 0, v2
	v_lshrrev_b32_e32 v9, 2, v9
	v_cmp_eq_u32_e64 s0, 3, v11
	s_delay_alu instid0(VALU_DEP_4)
	v_and_b32_e32 v12, 7, v4
	s_wait_alu 0xfffd
	v_cndmask_b32_e64 v2, 0, 1, vcc_lo
	v_cmp_ne_u32_e32 vcc_lo, 0, v6
	v_lshrrev_b32_e32 v4, 2, v4
	v_cmp_lt_i32_e64 s1, 5, v12
	v_cmp_eq_u32_e64 s2, 3, v12
	s_wait_alu 0xfffd
	v_cndmask_b32_e64 v6, 0, 1, vcc_lo
	v_cmp_lt_i32_e32 vcc_lo, 5, v11
	v_lshl_or_b32 v2, v2, 9, 0x7c00
	s_delay_alu instid0(VALU_DEP_3)
	v_lshl_or_b32 v6, v6, 9, 0x7c00
	s_or_b32 vcc_lo, s0, vcc_lo
	s_wait_alu 0xfffe
	v_add_co_ci_u32_e32 v9, vcc_lo, 0, v9, vcc_lo
	s_or_b32 vcc_lo, s2, s1
	s_wait_alu 0xfffe
	v_add_co_ci_u32_e32 v4, vcc_lo, 0, v4, vcc_lo
	v_cmp_gt_i32_e32 vcc_lo, 31, v8
	s_wait_alu 0xfffd
	v_cndmask_b32_e32 v9, 0x7c00, v9, vcc_lo
	v_cmp_gt_i32_e32 vcc_lo, 31, v10
	s_wait_alu 0xfffd
	v_cndmask_b32_e32 v4, 0x7c00, v4, vcc_lo
	v_cmp_eq_u32_e32 vcc_lo, 0x40f, v8
	s_wait_alu 0xfffd
	v_cndmask_b32_e32 v2, v9, v2, vcc_lo
	v_cmp_eq_u32_e32 vcc_lo, 0x40f, v10
	s_delay_alu instid0(VALU_DEP_2)
	v_and_or_b32 v2, 0x8000, v5, v2
	s_wait_alu 0xfffd
	v_cndmask_b32_e32 v4, v4, v6, vcc_lo
	v_add_co_u32 v0, vcc_lo, v0, s6
	s_wait_alu 0xfffd
	v_add_co_ci_u32_e32 v1, vcc_lo, s7, v1, vcc_lo
	s_delay_alu instid0(VALU_DEP_3) | instskip(SKIP_1) | instid1(VALU_DEP_1)
	v_and_or_b32 v4, 0x8000, v7, v4
	v_and_b32_e32 v2, 0xffff, v2
	v_lshl_or_b32 v2, v4, 16, v2
	v_lshrrev_b32_e32 v4, 16, v3
	global_store_b32 v[0:1], v2, off
	global_load_b32 v2, v[20:21], off offset:2920
	s_wait_loadcnt 0x0
	v_lshrrev_b32_e32 v5, 16, v2
	s_delay_alu instid0(VALU_DEP_1) | instskip(SKIP_1) | instid1(VALU_DEP_2)
	v_mul_f16_e32 v6, v4, v5
	v_mul_f16_e32 v5, v3, v5
	v_fmac_f16_e32 v6, v3, v2
	s_delay_alu instid0(VALU_DEP_2) | instskip(NEXT) | instid1(VALU_DEP_2)
	v_fma_f16 v2, v2, v4, -v5
	v_cvt_f32_f16_e32 v3, v6
	s_delay_alu instid0(VALU_DEP_2) | instskip(NEXT) | instid1(VALU_DEP_2)
	v_cvt_f32_f16_e32 v4, v2
	v_cvt_f64_f32_e32 v[2:3], v3
	s_delay_alu instid0(VALU_DEP_2) | instskip(NEXT) | instid1(VALU_DEP_2)
	v_cvt_f64_f32_e32 v[4:5], v4
	v_mul_f64_e32 v[2:3], s[8:9], v[2:3]
	s_delay_alu instid0(VALU_DEP_2) | instskip(NEXT) | instid1(VALU_DEP_2)
	v_mul_f64_e32 v[4:5], s[8:9], v[4:5]
	v_and_or_b32 v2, 0x1ff, v3, v2
	s_delay_alu instid0(VALU_DEP_2)
	v_and_or_b32 v4, 0x1ff, v5, v4
	v_lshrrev_b32_e32 v6, 8, v3
	v_bfe_u32 v7, v3, 20, 11
	v_lshrrev_b32_e32 v8, 8, v5
	v_cmp_ne_u32_e32 vcc_lo, 0, v2
	v_bfe_u32 v9, v5, 20, 11
	v_lshrrev_b32_e32 v3, 16, v3
	v_sub_nc_u32_e32 v10, 0x3f1, v7
	v_add_nc_u32_e32 v7, 0xfffffc10, v7
	s_wait_alu 0xfffd
	v_cndmask_b32_e64 v2, 0, 1, vcc_lo
	v_cmp_ne_u32_e32 vcc_lo, 0, v4
	v_lshrrev_b32_e32 v5, 16, v5
	s_delay_alu instid0(VALU_DEP_3) | instskip(SKIP_4) | instid1(VALU_DEP_3)
	v_and_or_b32 v2, 0xffe, v6, v2
	s_wait_alu 0xfffd
	v_cndmask_b32_e64 v4, 0, 1, vcc_lo
	v_sub_nc_u32_e32 v6, 0x3f1, v9
	v_add_nc_u32_e32 v9, 0xfffffc10, v9
	v_and_or_b32 v4, 0xffe, v8, v4
	v_med3_i32 v8, v10, 0, 13
	v_or_b32_e32 v10, 0x1000, v2
	v_med3_i32 v6, v6, 0, 13
	s_delay_alu instid0(VALU_DEP_4) | instskip(NEXT) | instid1(VALU_DEP_3)
	v_or_b32_e32 v11, 0x1000, v4
	v_lshrrev_b32_e32 v12, v8, v10
	s_delay_alu instid0(VALU_DEP_2) | instskip(NEXT) | instid1(VALU_DEP_2)
	v_lshrrev_b32_e32 v13, v6, v11
	v_lshlrev_b32_e32 v8, v8, v12
	s_delay_alu instid0(VALU_DEP_2) | instskip(NEXT) | instid1(VALU_DEP_2)
	v_lshlrev_b32_e32 v6, v6, v13
	v_cmp_ne_u32_e32 vcc_lo, v8, v10
	v_lshl_or_b32 v10, v7, 12, v2
	s_wait_alu 0xfffd
	v_cndmask_b32_e64 v8, 0, 1, vcc_lo
	v_cmp_ne_u32_e32 vcc_lo, v6, v11
	v_lshl_or_b32 v11, v9, 12, v4
	s_delay_alu instid0(VALU_DEP_3) | instskip(SKIP_3) | instid1(VALU_DEP_2)
	v_or_b32_e32 v8, v12, v8
	s_wait_alu 0xfffd
	v_cndmask_b32_e64 v6, 0, 1, vcc_lo
	v_cmp_gt_i32_e32 vcc_lo, 1, v7
	v_or_b32_e32 v6, v13, v6
	s_wait_alu 0xfffd
	v_cndmask_b32_e32 v8, v10, v8, vcc_lo
	v_cmp_gt_i32_e32 vcc_lo, 1, v9
	s_delay_alu instid0(VALU_DEP_2)
	v_and_b32_e32 v10, 7, v8
	s_wait_alu 0xfffd
	v_cndmask_b32_e32 v6, v11, v6, vcc_lo
	v_cmp_ne_u32_e32 vcc_lo, 0, v2
	v_lshrrev_b32_e32 v8, 2, v8
	v_cmp_eq_u32_e64 s0, 3, v10
	s_delay_alu instid0(VALU_DEP_4)
	v_and_b32_e32 v11, 7, v6
	s_wait_alu 0xfffd
	v_cndmask_b32_e64 v2, 0, 1, vcc_lo
	v_cmp_ne_u32_e32 vcc_lo, 0, v4
	v_lshrrev_b32_e32 v6, 2, v6
	v_cmp_lt_i32_e64 s1, 5, v11
	v_cmp_eq_u32_e64 s2, 3, v11
	s_wait_alu 0xfffd
	v_cndmask_b32_e64 v4, 0, 1, vcc_lo
	v_cmp_lt_i32_e32 vcc_lo, 5, v10
	v_lshl_or_b32 v2, v2, 9, 0x7c00
	s_delay_alu instid0(VALU_DEP_3)
	v_lshl_or_b32 v4, v4, 9, 0x7c00
	s_or_b32 vcc_lo, s0, vcc_lo
	s_wait_alu 0xfffe
	v_add_co_ci_u32_e32 v8, vcc_lo, 0, v8, vcc_lo
	s_or_b32 vcc_lo, s2, s1
	s_wait_alu 0xfffe
	v_add_co_ci_u32_e32 v6, vcc_lo, 0, v6, vcc_lo
	v_cmp_gt_i32_e32 vcc_lo, 31, v7
	s_wait_alu 0xfffd
	v_cndmask_b32_e32 v8, 0x7c00, v8, vcc_lo
	v_cmp_gt_i32_e32 vcc_lo, 31, v9
	s_wait_alu 0xfffd
	v_cndmask_b32_e32 v6, 0x7c00, v6, vcc_lo
	v_cmp_eq_u32_e32 vcc_lo, 0x40f, v7
	s_wait_alu 0xfffd
	v_cndmask_b32_e32 v2, v8, v2, vcc_lo
	v_cmp_eq_u32_e32 vcc_lo, 0x40f, v9
	s_delay_alu instid0(VALU_DEP_2)
	v_and_or_b32 v2, 0x8000, v3, v2
	s_wait_alu 0xfffd
	v_cndmask_b32_e32 v4, v6, v4, vcc_lo
	v_add_co_u32 v0, vcc_lo, v0, s6
	s_wait_alu 0xfffd
	v_add_co_ci_u32_e32 v1, vcc_lo, s7, v1, vcc_lo
	s_delay_alu instid0(VALU_DEP_3) | instskip(SKIP_1) | instid1(VALU_DEP_1)
	v_and_or_b32 v3, 0x8000, v5, v4
	v_and_b32_e32 v2, 0xffff, v2
	v_lshl_or_b32 v2, v3, 16, v2
	ds_load_b32 v3, v54 offset:3220
	global_store_b32 v[0:1], v2, off
	global_load_b32 v2, v[20:21], off offset:3220
	s_wait_dscnt 0x0
	v_lshrrev_b32_e32 v4, 16, v3
	s_wait_loadcnt 0x0
	v_lshrrev_b32_e32 v5, 16, v2
	s_delay_alu instid0(VALU_DEP_1) | instskip(SKIP_1) | instid1(VALU_DEP_2)
	v_mul_f16_e32 v6, v4, v5
	v_mul_f16_e32 v5, v3, v5
	v_fmac_f16_e32 v6, v3, v2
	s_delay_alu instid0(VALU_DEP_2) | instskip(NEXT) | instid1(VALU_DEP_2)
	v_fma_f16 v2, v2, v4, -v5
	v_cvt_f32_f16_e32 v3, v6
	s_delay_alu instid0(VALU_DEP_2) | instskip(NEXT) | instid1(VALU_DEP_2)
	v_cvt_f32_f16_e32 v4, v2
	v_cvt_f64_f32_e32 v[2:3], v3
	s_delay_alu instid0(VALU_DEP_2) | instskip(NEXT) | instid1(VALU_DEP_2)
	v_cvt_f64_f32_e32 v[4:5], v4
	v_mul_f64_e32 v[2:3], s[8:9], v[2:3]
	s_delay_alu instid0(VALU_DEP_2) | instskip(NEXT) | instid1(VALU_DEP_2)
	v_mul_f64_e32 v[4:5], s[8:9], v[4:5]
	v_and_or_b32 v2, 0x1ff, v3, v2
	s_delay_alu instid0(VALU_DEP_2)
	v_and_or_b32 v4, 0x1ff, v5, v4
	v_lshrrev_b32_e32 v6, 8, v3
	v_bfe_u32 v7, v3, 20, 11
	v_lshrrev_b32_e32 v8, 8, v5
	v_cmp_ne_u32_e32 vcc_lo, 0, v2
	v_bfe_u32 v9, v5, 20, 11
	v_lshrrev_b32_e32 v3, 16, v3
	v_sub_nc_u32_e32 v10, 0x3f1, v7
	v_add_nc_u32_e32 v7, 0xfffffc10, v7
	s_wait_alu 0xfffd
	v_cndmask_b32_e64 v2, 0, 1, vcc_lo
	v_cmp_ne_u32_e32 vcc_lo, 0, v4
	v_lshrrev_b32_e32 v5, 16, v5
	s_delay_alu instid0(VALU_DEP_3) | instskip(SKIP_4) | instid1(VALU_DEP_3)
	v_and_or_b32 v2, 0xffe, v6, v2
	s_wait_alu 0xfffd
	v_cndmask_b32_e64 v4, 0, 1, vcc_lo
	v_sub_nc_u32_e32 v6, 0x3f1, v9
	v_add_nc_u32_e32 v9, 0xfffffc10, v9
	v_and_or_b32 v4, 0xffe, v8, v4
	v_med3_i32 v8, v10, 0, 13
	v_or_b32_e32 v10, 0x1000, v2
	v_med3_i32 v6, v6, 0, 13
	s_delay_alu instid0(VALU_DEP_4) | instskip(NEXT) | instid1(VALU_DEP_3)
	v_or_b32_e32 v11, 0x1000, v4
	v_lshrrev_b32_e32 v12, v8, v10
	s_delay_alu instid0(VALU_DEP_2) | instskip(NEXT) | instid1(VALU_DEP_2)
	v_lshrrev_b32_e32 v13, v6, v11
	v_lshlrev_b32_e32 v8, v8, v12
	s_delay_alu instid0(VALU_DEP_2) | instskip(NEXT) | instid1(VALU_DEP_2)
	v_lshlrev_b32_e32 v6, v6, v13
	v_cmp_ne_u32_e32 vcc_lo, v8, v10
	v_lshl_or_b32 v10, v7, 12, v2
	s_wait_alu 0xfffd
	v_cndmask_b32_e64 v8, 0, 1, vcc_lo
	v_cmp_ne_u32_e32 vcc_lo, v6, v11
	v_lshl_or_b32 v11, v9, 12, v4
	s_delay_alu instid0(VALU_DEP_3) | instskip(SKIP_3) | instid1(VALU_DEP_2)
	v_or_b32_e32 v8, v12, v8
	s_wait_alu 0xfffd
	v_cndmask_b32_e64 v6, 0, 1, vcc_lo
	v_cmp_gt_i32_e32 vcc_lo, 1, v7
	v_or_b32_e32 v6, v13, v6
	s_wait_alu 0xfffd
	v_cndmask_b32_e32 v8, v10, v8, vcc_lo
	v_cmp_gt_i32_e32 vcc_lo, 1, v9
	s_delay_alu instid0(VALU_DEP_2)
	v_and_b32_e32 v10, 7, v8
	s_wait_alu 0xfffd
	v_cndmask_b32_e32 v6, v11, v6, vcc_lo
	v_cmp_ne_u32_e32 vcc_lo, 0, v2
	v_lshrrev_b32_e32 v8, 2, v8
	v_cmp_eq_u32_e64 s0, 3, v10
	s_delay_alu instid0(VALU_DEP_4)
	v_and_b32_e32 v11, 7, v6
	s_wait_alu 0xfffd
	v_cndmask_b32_e64 v2, 0, 1, vcc_lo
	v_cmp_ne_u32_e32 vcc_lo, 0, v4
	v_lshrrev_b32_e32 v6, 2, v6
	v_cmp_lt_i32_e64 s1, 5, v11
	v_cmp_eq_u32_e64 s2, 3, v11
	s_wait_alu 0xfffd
	v_cndmask_b32_e64 v4, 0, 1, vcc_lo
	v_cmp_lt_i32_e32 vcc_lo, 5, v10
	v_lshl_or_b32 v2, v2, 9, 0x7c00
	s_delay_alu instid0(VALU_DEP_3)
	v_lshl_or_b32 v4, v4, 9, 0x7c00
	s_or_b32 vcc_lo, s0, vcc_lo
	s_wait_alu 0xfffe
	v_add_co_ci_u32_e32 v8, vcc_lo, 0, v8, vcc_lo
	s_or_b32 vcc_lo, s2, s1
	s_wait_alu 0xfffe
	v_add_co_ci_u32_e32 v6, vcc_lo, 0, v6, vcc_lo
	v_cmp_gt_i32_e32 vcc_lo, 31, v7
	s_wait_alu 0xfffd
	v_cndmask_b32_e32 v8, 0x7c00, v8, vcc_lo
	v_cmp_gt_i32_e32 vcc_lo, 31, v9
	s_wait_alu 0xfffd
	v_cndmask_b32_e32 v6, 0x7c00, v6, vcc_lo
	v_cmp_eq_u32_e32 vcc_lo, 0x40f, v7
	s_wait_alu 0xfffd
	v_cndmask_b32_e32 v2, v8, v2, vcc_lo
	v_cmp_eq_u32_e32 vcc_lo, 0x40f, v9
	s_delay_alu instid0(VALU_DEP_2)
	v_and_or_b32 v2, 0x8000, v3, v2
	s_wait_alu 0xfffd
	v_cndmask_b32_e32 v4, v6, v4, vcc_lo
	v_add_co_u32 v0, vcc_lo, v0, s6
	s_wait_alu 0xfffd
	v_add_co_ci_u32_e32 v1, vcc_lo, s7, v1, vcc_lo
	s_delay_alu instid0(VALU_DEP_3) | instskip(SKIP_1) | instid1(VALU_DEP_1)
	v_and_or_b32 v3, 0x8000, v5, v4
	v_and_b32_e32 v2, 0xffff, v2
	v_lshl_or_b32 v2, v3, 16, v2
	global_store_b32 v[0:1], v2, off
.LBB0_15:
	s_nop 0
	s_sendmsg sendmsg(MSG_DEALLOC_VGPRS)
	s_endpgm
	.section	.rodata,"a",@progbits
	.p2align	6, 0x0
	.amdhsa_kernel bluestein_single_fwd_len825_dim1_half_op_CI_CI
		.amdhsa_group_segment_fixed_size 3300
		.amdhsa_private_segment_fixed_size 0
		.amdhsa_kernarg_size 104
		.amdhsa_user_sgpr_count 2
		.amdhsa_user_sgpr_dispatch_ptr 0
		.amdhsa_user_sgpr_queue_ptr 0
		.amdhsa_user_sgpr_kernarg_segment_ptr 1
		.amdhsa_user_sgpr_dispatch_id 0
		.amdhsa_user_sgpr_private_segment_size 0
		.amdhsa_wavefront_size32 1
		.amdhsa_uses_dynamic_stack 0
		.amdhsa_enable_private_segment 0
		.amdhsa_system_sgpr_workgroup_id_x 1
		.amdhsa_system_sgpr_workgroup_id_y 0
		.amdhsa_system_sgpr_workgroup_id_z 0
		.amdhsa_system_sgpr_workgroup_info 0
		.amdhsa_system_vgpr_workitem_id 0
		.amdhsa_next_free_vgpr 185
		.amdhsa_next_free_sgpr 16
		.amdhsa_reserve_vcc 1
		.amdhsa_float_round_mode_32 0
		.amdhsa_float_round_mode_16_64 0
		.amdhsa_float_denorm_mode_32 3
		.amdhsa_float_denorm_mode_16_64 3
		.amdhsa_fp16_overflow 0
		.amdhsa_workgroup_processor_mode 1
		.amdhsa_memory_ordered 1
		.amdhsa_forward_progress 0
		.amdhsa_round_robin_scheduling 0
		.amdhsa_exception_fp_ieee_invalid_op 0
		.amdhsa_exception_fp_denorm_src 0
		.amdhsa_exception_fp_ieee_div_zero 0
		.amdhsa_exception_fp_ieee_overflow 0
		.amdhsa_exception_fp_ieee_underflow 0
		.amdhsa_exception_fp_ieee_inexact 0
		.amdhsa_exception_int_div_zero 0
	.end_amdhsa_kernel
	.text
.Lfunc_end0:
	.size	bluestein_single_fwd_len825_dim1_half_op_CI_CI, .Lfunc_end0-bluestein_single_fwd_len825_dim1_half_op_CI_CI
                                        ; -- End function
	.section	.AMDGPU.csdata,"",@progbits
; Kernel info:
; codeLenInByte = 40464
; NumSgprs: 18
; NumVgprs: 185
; ScratchSize: 0
; MemoryBound: 0
; FloatMode: 240
; IeeeMode: 1
; LDSByteSize: 3300 bytes/workgroup (compile time only)
; SGPRBlocks: 2
; VGPRBlocks: 23
; NumSGPRsForWavesPerEU: 18
; NumVGPRsForWavesPerEU: 185
; Occupancy: 8
; WaveLimiterHint : 1
; COMPUTE_PGM_RSRC2:SCRATCH_EN: 0
; COMPUTE_PGM_RSRC2:USER_SGPR: 2
; COMPUTE_PGM_RSRC2:TRAP_HANDLER: 0
; COMPUTE_PGM_RSRC2:TGID_X_EN: 1
; COMPUTE_PGM_RSRC2:TGID_Y_EN: 0
; COMPUTE_PGM_RSRC2:TGID_Z_EN: 0
; COMPUTE_PGM_RSRC2:TIDIG_COMP_CNT: 0
	.text
	.p2alignl 7, 3214868480
	.fill 96, 4, 3214868480
	.type	__hip_cuid_e98491cb5e1a65b1,@object ; @__hip_cuid_e98491cb5e1a65b1
	.section	.bss,"aw",@nobits
	.globl	__hip_cuid_e98491cb5e1a65b1
__hip_cuid_e98491cb5e1a65b1:
	.byte	0                               ; 0x0
	.size	__hip_cuid_e98491cb5e1a65b1, 1

	.ident	"AMD clang version 19.0.0git (https://github.com/RadeonOpenCompute/llvm-project roc-6.4.0 25133 c7fe45cf4b819c5991fe208aaa96edf142730f1d)"
	.section	".note.GNU-stack","",@progbits
	.addrsig
	.addrsig_sym __hip_cuid_e98491cb5e1a65b1
	.amdgpu_metadata
---
amdhsa.kernels:
  - .args:
      - .actual_access:  read_only
        .address_space:  global
        .offset:         0
        .size:           8
        .value_kind:     global_buffer
      - .actual_access:  read_only
        .address_space:  global
        .offset:         8
        .size:           8
        .value_kind:     global_buffer
      - .actual_access:  read_only
        .address_space:  global
        .offset:         16
        .size:           8
        .value_kind:     global_buffer
      - .actual_access:  read_only
        .address_space:  global
        .offset:         24
        .size:           8
        .value_kind:     global_buffer
      - .actual_access:  read_only
        .address_space:  global
        .offset:         32
        .size:           8
        .value_kind:     global_buffer
      - .offset:         40
        .size:           8
        .value_kind:     by_value
      - .address_space:  global
        .offset:         48
        .size:           8
        .value_kind:     global_buffer
      - .address_space:  global
        .offset:         56
        .size:           8
        .value_kind:     global_buffer
      - .address_space:  global
        .offset:         64
        .size:           8
        .value_kind:     global_buffer
      - .address_space:  global
        .offset:         72
        .size:           8
        .value_kind:     global_buffer
      - .offset:         80
        .size:           4
        .value_kind:     by_value
      - .address_space:  global
        .offset:         88
        .size:           8
        .value_kind:     global_buffer
      - .address_space:  global
        .offset:         96
        .size:           8
        .value_kind:     global_buffer
    .group_segment_fixed_size: 3300
    .kernarg_segment_align: 8
    .kernarg_segment_size: 104
    .language:       OpenCL C
    .language_version:
      - 2
      - 0
    .max_flat_workgroup_size: 55
    .name:           bluestein_single_fwd_len825_dim1_half_op_CI_CI
    .private_segment_fixed_size: 0
    .sgpr_count:     18
    .sgpr_spill_count: 0
    .symbol:         bluestein_single_fwd_len825_dim1_half_op_CI_CI.kd
    .uniform_work_group_size: 1
    .uses_dynamic_stack: false
    .vgpr_count:     185
    .vgpr_spill_count: 0
    .wavefront_size: 32
    .workgroup_processor_mode: 1
amdhsa.target:   amdgcn-amd-amdhsa--gfx1201
amdhsa.version:
  - 1
  - 2
...

	.end_amdgpu_metadata
